;; amdgpu-corpus repo=ROCm/rocFFT kind=compiled arch=gfx906 opt=O3
	.text
	.amdgcn_target "amdgcn-amd-amdhsa--gfx906"
	.amdhsa_code_object_version 6
	.protected	fft_rtc_fwd_len1728_factors_3_6_6_16_wgs_108_tpt_108_halfLds_dp_op_CI_CI_sbrr_dirReg ; -- Begin function fft_rtc_fwd_len1728_factors_3_6_6_16_wgs_108_tpt_108_halfLds_dp_op_CI_CI_sbrr_dirReg
	.globl	fft_rtc_fwd_len1728_factors_3_6_6_16_wgs_108_tpt_108_halfLds_dp_op_CI_CI_sbrr_dirReg
	.p2align	8
	.type	fft_rtc_fwd_len1728_factors_3_6_6_16_wgs_108_tpt_108_halfLds_dp_op_CI_CI_sbrr_dirReg,@function
fft_rtc_fwd_len1728_factors_3_6_6_16_wgs_108_tpt_108_halfLds_dp_op_CI_CI_sbrr_dirReg: ; @fft_rtc_fwd_len1728_factors_3_6_6_16_wgs_108_tpt_108_halfLds_dp_op_CI_CI_sbrr_dirReg
; %bb.0:
	s_load_dwordx4 s[16:19], s[4:5], 0x18
	s_load_dwordx4 s[12:15], s[4:5], 0x0
	;; [unrolled: 1-line block ×3, first 2 shown]
	v_mul_u32_u24_e32 v1, 0x25f, v0
	v_add_u32_sdwa v6, s6, v1 dst_sel:DWORD dst_unused:UNUSED_PAD src0_sel:DWORD src1_sel:WORD_1
	s_waitcnt lgkmcnt(0)
	s_load_dwordx2 s[2:3], s[16:17], 0x0
	s_load_dwordx2 s[20:21], s[18:19], 0x0
	v_cmp_lt_u64_e64 s[0:1], s[14:15], 2
	v_mov_b32_e32 v1, 0
	v_mov_b32_e32 v4, 0
	;; [unrolled: 1-line block ×3, first 2 shown]
	s_and_b64 vcc, exec, s[0:1]
	v_mov_b32_e32 v5, 0
	s_cbranch_vccnz .LBB0_8
; %bb.1:
	s_load_dwordx2 s[0:1], s[4:5], 0x10
	s_add_u32 s6, s18, 8
	s_addc_u32 s7, s19, 0
	s_add_u32 s22, s16, 8
	v_mov_b32_e32 v4, 0
	s_addc_u32 s23, s17, 0
	v_mov_b32_e32 v5, 0
	s_waitcnt lgkmcnt(0)
	s_add_u32 s24, s0, 8
	v_mov_b32_e32 v91, v5
	s_addc_u32 s25, s1, 0
	s_mov_b64 s[26:27], 1
	v_mov_b32_e32 v90, v4
.LBB0_2:                                ; =>This Inner Loop Header: Depth=1
	s_load_dwordx2 s[28:29], s[24:25], 0x0
                                        ; implicit-def: $vgpr92_vgpr93
	s_waitcnt lgkmcnt(0)
	v_or_b32_e32 v2, s29, v7
	v_cmp_ne_u64_e32 vcc, 0, v[1:2]
	s_and_saveexec_b64 s[0:1], vcc
	s_xor_b64 s[30:31], exec, s[0:1]
	s_cbranch_execz .LBB0_4
; %bb.3:                                ;   in Loop: Header=BB0_2 Depth=1
	v_cvt_f32_u32_e32 v2, s28
	v_cvt_f32_u32_e32 v3, s29
	s_sub_u32 s0, 0, s28
	s_subb_u32 s1, 0, s29
	v_mac_f32_e32 v2, 0x4f800000, v3
	v_rcp_f32_e32 v2, v2
	v_mul_f32_e32 v2, 0x5f7ffffc, v2
	v_mul_f32_e32 v3, 0x2f800000, v2
	v_trunc_f32_e32 v3, v3
	v_mac_f32_e32 v2, 0xcf800000, v3
	v_cvt_u32_f32_e32 v3, v3
	v_cvt_u32_f32_e32 v2, v2
	v_mul_lo_u32 v8, s0, v3
	v_mul_hi_u32 v9, s0, v2
	v_mul_lo_u32 v11, s1, v2
	v_mul_lo_u32 v10, s0, v2
	v_add_u32_e32 v8, v9, v8
	v_add_u32_e32 v8, v8, v11
	v_mul_hi_u32 v9, v2, v10
	v_mul_lo_u32 v11, v2, v8
	v_mul_hi_u32 v13, v2, v8
	v_mul_hi_u32 v12, v3, v10
	v_mul_lo_u32 v10, v3, v10
	v_mul_hi_u32 v14, v3, v8
	v_add_co_u32_e32 v9, vcc, v9, v11
	v_addc_co_u32_e32 v11, vcc, 0, v13, vcc
	v_mul_lo_u32 v8, v3, v8
	v_add_co_u32_e32 v9, vcc, v9, v10
	v_addc_co_u32_e32 v9, vcc, v11, v12, vcc
	v_addc_co_u32_e32 v10, vcc, 0, v14, vcc
	v_add_co_u32_e32 v8, vcc, v9, v8
	v_addc_co_u32_e32 v9, vcc, 0, v10, vcc
	v_add_co_u32_e32 v2, vcc, v2, v8
	v_addc_co_u32_e32 v3, vcc, v3, v9, vcc
	v_mul_lo_u32 v8, s0, v3
	v_mul_hi_u32 v9, s0, v2
	v_mul_lo_u32 v10, s1, v2
	v_mul_lo_u32 v11, s0, v2
	v_add_u32_e32 v8, v9, v8
	v_add_u32_e32 v8, v8, v10
	v_mul_lo_u32 v12, v2, v8
	v_mul_hi_u32 v13, v2, v11
	v_mul_hi_u32 v14, v2, v8
	;; [unrolled: 1-line block ×3, first 2 shown]
	v_mul_lo_u32 v11, v3, v11
	v_mul_hi_u32 v9, v3, v8
	v_add_co_u32_e32 v12, vcc, v13, v12
	v_addc_co_u32_e32 v13, vcc, 0, v14, vcc
	v_mul_lo_u32 v8, v3, v8
	v_add_co_u32_e32 v11, vcc, v12, v11
	v_addc_co_u32_e32 v10, vcc, v13, v10, vcc
	v_addc_co_u32_e32 v9, vcc, 0, v9, vcc
	v_add_co_u32_e32 v8, vcc, v10, v8
	v_addc_co_u32_e32 v9, vcc, 0, v9, vcc
	v_add_co_u32_e32 v8, vcc, v2, v8
	v_addc_co_u32_e32 v9, vcc, v3, v9, vcc
	v_mad_u64_u32 v[2:3], s[0:1], v6, v9, 0
	v_mul_hi_u32 v10, v6, v8
	v_add_co_u32_e32 v10, vcc, v10, v2
	v_addc_co_u32_e32 v11, vcc, 0, v3, vcc
	v_mad_u64_u32 v[2:3], s[0:1], v7, v8, 0
	v_mad_u64_u32 v[8:9], s[0:1], v7, v9, 0
	v_add_co_u32_e32 v2, vcc, v10, v2
	v_addc_co_u32_e32 v2, vcc, v11, v3, vcc
	v_addc_co_u32_e32 v3, vcc, 0, v9, vcc
	v_add_co_u32_e32 v8, vcc, v2, v8
	v_addc_co_u32_e32 v9, vcc, 0, v3, vcc
	v_mul_lo_u32 v10, s29, v8
	v_mul_lo_u32 v11, s28, v9
	v_mad_u64_u32 v[2:3], s[0:1], s28, v8, 0
	v_add3_u32 v3, v3, v11, v10
	v_sub_u32_e32 v10, v7, v3
	v_mov_b32_e32 v11, s29
	v_sub_co_u32_e32 v2, vcc, v6, v2
	v_subb_co_u32_e64 v10, s[0:1], v10, v11, vcc
	v_subrev_co_u32_e64 v11, s[0:1], s28, v2
	v_subbrev_co_u32_e64 v10, s[0:1], 0, v10, s[0:1]
	v_cmp_le_u32_e64 s[0:1], s29, v10
	v_cndmask_b32_e64 v12, 0, -1, s[0:1]
	v_cmp_le_u32_e64 s[0:1], s28, v11
	v_cndmask_b32_e64 v11, 0, -1, s[0:1]
	v_cmp_eq_u32_e64 s[0:1], s29, v10
	v_cndmask_b32_e64 v10, v12, v11, s[0:1]
	v_add_co_u32_e64 v11, s[0:1], 2, v8
	v_addc_co_u32_e64 v12, s[0:1], 0, v9, s[0:1]
	v_add_co_u32_e64 v13, s[0:1], 1, v8
	v_addc_co_u32_e64 v14, s[0:1], 0, v9, s[0:1]
	v_subb_co_u32_e32 v3, vcc, v7, v3, vcc
	v_cmp_ne_u32_e64 s[0:1], 0, v10
	v_cmp_le_u32_e32 vcc, s29, v3
	v_cndmask_b32_e64 v10, v14, v12, s[0:1]
	v_cndmask_b32_e64 v12, 0, -1, vcc
	v_cmp_le_u32_e32 vcc, s28, v2
	v_cndmask_b32_e64 v2, 0, -1, vcc
	v_cmp_eq_u32_e32 vcc, s29, v3
	v_cndmask_b32_e32 v2, v12, v2, vcc
	v_cmp_ne_u32_e32 vcc, 0, v2
	v_cndmask_b32_e64 v2, v13, v11, s[0:1]
	v_cndmask_b32_e32 v93, v9, v10, vcc
	v_cndmask_b32_e32 v92, v8, v2, vcc
.LBB0_4:                                ;   in Loop: Header=BB0_2 Depth=1
	s_andn2_saveexec_b64 s[0:1], s[30:31]
	s_cbranch_execz .LBB0_6
; %bb.5:                                ;   in Loop: Header=BB0_2 Depth=1
	v_cvt_f32_u32_e32 v2, s28
	s_sub_i32 s30, 0, s28
	v_mov_b32_e32 v93, v1
	v_rcp_iflag_f32_e32 v2, v2
	v_mul_f32_e32 v2, 0x4f7ffffe, v2
	v_cvt_u32_f32_e32 v2, v2
	v_mul_lo_u32 v3, s30, v2
	v_mul_hi_u32 v3, v2, v3
	v_add_u32_e32 v2, v2, v3
	v_mul_hi_u32 v2, v6, v2
	v_mul_lo_u32 v3, v2, s28
	v_add_u32_e32 v8, 1, v2
	v_sub_u32_e32 v3, v6, v3
	v_subrev_u32_e32 v9, s28, v3
	v_cmp_le_u32_e32 vcc, s28, v3
	v_cndmask_b32_e32 v3, v3, v9, vcc
	v_cndmask_b32_e32 v2, v2, v8, vcc
	v_add_u32_e32 v8, 1, v2
	v_cmp_le_u32_e32 vcc, s28, v3
	v_cndmask_b32_e32 v92, v2, v8, vcc
.LBB0_6:                                ;   in Loop: Header=BB0_2 Depth=1
	s_or_b64 exec, exec, s[0:1]
	v_mul_lo_u32 v8, v93, s28
	v_mul_lo_u32 v9, v92, s29
	v_mad_u64_u32 v[2:3], s[0:1], v92, s28, 0
	s_load_dwordx2 s[0:1], s[22:23], 0x0
	s_load_dwordx2 s[28:29], s[6:7], 0x0
	v_add3_u32 v3, v3, v9, v8
	v_sub_co_u32_e32 v2, vcc, v6, v2
	v_subb_co_u32_e32 v3, vcc, v7, v3, vcc
	s_waitcnt lgkmcnt(0)
	v_mul_lo_u32 v6, s0, v3
	v_mul_lo_u32 v7, s1, v2
	v_mad_u64_u32 v[4:5], s[0:1], s0, v2, v[4:5]
	v_mul_lo_u32 v3, s28, v3
	v_mul_lo_u32 v8, s29, v2
	v_mad_u64_u32 v[90:91], s[0:1], s28, v2, v[90:91]
	s_add_u32 s26, s26, 1
	s_addc_u32 s27, s27, 0
	s_add_u32 s6, s6, 8
	v_add3_u32 v91, v8, v91, v3
	s_addc_u32 s7, s7, 0
	v_mov_b32_e32 v2, s14
	s_add_u32 s22, s22, 8
	v_mov_b32_e32 v3, s15
	s_addc_u32 s23, s23, 0
	v_cmp_ge_u64_e32 vcc, s[26:27], v[2:3]
	s_add_u32 s24, s24, 8
	v_add3_u32 v5, v7, v5, v6
	s_addc_u32 s25, s25, 0
	s_cbranch_vccnz .LBB0_9
; %bb.7:                                ;   in Loop: Header=BB0_2 Depth=1
	v_mov_b32_e32 v6, v92
	v_mov_b32_e32 v7, v93
	s_branch .LBB0_2
.LBB0_8:
	v_mov_b32_e32 v91, v5
	v_mov_b32_e32 v93, v7
	;; [unrolled: 1-line block ×4, first 2 shown]
.LBB0_9:
	s_load_dwordx2 s[0:1], s[4:5], 0x28
	s_lshl_b64 s[14:15], s[14:15], 3
	s_add_u32 s4, s18, s14
	s_addc_u32 s5, s19, s15
                                        ; implicit-def: $sgpr18
                                        ; implicit-def: $vgpr113
                                        ; implicit-def: $vgpr117
                                        ; implicit-def: $vgpr116
                                        ; implicit-def: $vgpr114
                                        ; implicit-def: $vgpr115
	s_waitcnt lgkmcnt(0)
	v_cmp_gt_u64_e32 vcc, s[0:1], v[92:93]
	v_cmp_le_u64_e64 s[0:1], s[0:1], v[92:93]
	s_and_saveexec_b64 s[6:7], s[0:1]
	s_xor_b64 s[0:1], exec, s[6:7]
; %bb.10:
	s_mov_b32 s6, 0x25ed098
	v_mul_hi_u32 v1, v0, s6
	s_mov_b32 s18, 0
                                        ; implicit-def: $vgpr4_vgpr5
	v_mul_u32_u24_e32 v1, 0x6c, v1
	v_sub_u32_e32 v113, v0, v1
	v_add_u32_e32 v117, 0x6c, v113
	v_add_u32_e32 v116, 0xd8, v113
	;; [unrolled: 1-line block ×4, first 2 shown]
                                        ; implicit-def: $vgpr0
; %bb.11:
	s_or_saveexec_b64 s[6:7], s[0:1]
	s_load_dwordx2 s[4:5], s[4:5], 0x0
	v_mov_b32_e32 v112, s18
                                        ; implicit-def: $vgpr6_vgpr7
                                        ; implicit-def: $vgpr10_vgpr11
                                        ; implicit-def: $vgpr14_vgpr15
                                        ; implicit-def: $vgpr22_vgpr23
                                        ; implicit-def: $vgpr18_vgpr19
                                        ; implicit-def: $vgpr26_vgpr27
                                        ; implicit-def: $vgpr58_vgpr59
                                        ; implicit-def: $vgpr46_vgpr47
                                        ; implicit-def: $vgpr34_vgpr35
                                        ; implicit-def: $vgpr50_vgpr51
                                        ; implicit-def: $vgpr54_vgpr55
                                        ; implicit-def: $vgpr38_vgpr39
                                        ; implicit-def: $vgpr88_vgpr89
                                        ; implicit-def: $vgpr84_vgpr85
                                        ; implicit-def: $vgpr80_vgpr81
                                        ; implicit-def: $vgpr42_vgpr43
                                        ; implicit-def: $vgpr30_vgpr31
                                        ; implicit-def: $vgpr2_vgpr3
	s_xor_b64 exec, exec, s[6:7]
	s_cbranch_execz .LBB0_15
; %bb.12:
	s_add_u32 s0, s16, s14
	s_mov_b32 s14, 0x25ed098
	s_addc_u32 s1, s17, s15
	v_mul_hi_u32 v1, v0, s14
	s_load_dwordx2 s[0:1], s[0:1], 0x0
                                        ; implicit-def: $vgpr78_vgpr79
                                        ; implicit-def: $vgpr82_vgpr83
                                        ; implicit-def: $vgpr86_vgpr87
	v_mul_u32_u24_e32 v1, 0x6c, v1
	v_sub_u32_e32 v113, v0, v1
	s_waitcnt lgkmcnt(0)
	v_mul_lo_u32 v8, s1, v92
	v_mad_u64_u32 v[0:1], s[14:15], s2, v113, 0
	v_mul_lo_u32 v9, s0, v93
	v_mad_u64_u32 v[2:3], s[0:1], s0, v92, 0
	v_add_u32_e32 v117, 0x6c, v113
	v_add_u32_e32 v26, 0x4ec, v113
	v_mad_u64_u32 v[6:7], s[0:1], s3, v113, v[1:2]
	v_add3_u32 v3, v3, v9, v8
	v_lshlrev_b64 v[2:3], 4, v[2:3]
	v_mov_b32_e32 v1, v6
	v_mov_b32_e32 v6, s9
	v_add_co_u32_e64 v7, s[0:1], s8, v2
	v_add_u32_e32 v8, 0x240, v113
	v_addc_co_u32_e64 v6, s[0:1], v6, v3, s[0:1]
	v_lshlrev_b64 v[2:3], 4, v[4:5]
	v_mad_u64_u32 v[4:5], s[0:1], s2, v8, 0
	v_add_co_u32_e64 v60, s[0:1], v7, v2
	v_mov_b32_e32 v2, v5
	v_addc_co_u32_e64 v61, s[0:1], v6, v3, s[0:1]
	v_mad_u64_u32 v[2:3], s[0:1], s3, v8, v[2:3]
	v_lshlrev_b64 v[0:1], 4, v[0:1]
	v_add_u32_e32 v116, 0xd8, v113
	v_add_co_u32_e64 v8, s[0:1], v60, v0
	v_mov_b32_e32 v5, v2
	v_or_b32_e32 v2, 0x480, v113
	v_addc_co_u32_e64 v9, s[0:1], v61, v1, s[0:1]
	v_mad_u64_u32 v[10:11], s[0:1], s2, v2, 0
	v_lshlrev_b64 v[0:1], 4, v[4:5]
	v_add_u32_e32 v33, 0x318, v113
	v_add_co_u32_e64 v12, s[0:1], v60, v0
	v_mov_b32_e32 v0, v11
	v_addc_co_u32_e64 v13, s[0:1], v61, v1, s[0:1]
	v_mad_u64_u32 v[14:15], s[0:1], s3, v2, v[0:1]
	v_mad_u64_u32 v[15:16], s[0:1], s2, v117, 0
	v_mov_b32_e32 v11, v14
	global_load_dwordx4 v[0:3], v[8:9], off
	global_load_dwordx4 v[4:7], v[12:13], off
	v_lshlrev_b64 v[8:9], 4, v[10:11]
	v_mov_b32_e32 v10, v16
	v_mad_u64_u32 v[10:11], s[0:1], s3, v117, v[10:11]
	v_add_co_u32_e64 v17, s[0:1], v60, v8
	v_mov_b32_e32 v16, v10
	v_add_u32_e32 v10, 0x2ac, v113
	v_addc_co_u32_e64 v18, s[0:1], v61, v9, s[0:1]
	v_mad_u64_u32 v[19:20], s[0:1], s2, v10, 0
	v_lshlrev_b64 v[8:9], 4, v[15:16]
	v_add_u32_e32 v114, 0x144, v113
	v_add_co_u32_e64 v21, s[0:1], v60, v8
	v_mov_b32_e32 v8, v20
	v_addc_co_u32_e64 v22, s[0:1], v61, v9, s[0:1]
	v_mad_u64_u32 v[23:24], s[0:1], s3, v10, v[8:9]
	v_mad_u64_u32 v[24:25], s[0:1], s2, v26, 0
	global_load_dwordx4 v[8:11], v[17:18], off
	global_load_dwordx4 v[12:15], v[21:22], off
	v_mov_b32_e32 v20, v23
	v_mov_b32_e32 v18, v25
	v_lshlrev_b64 v[16:17], 4, v[19:20]
	v_mad_u64_u32 v[18:19], s[0:1], s3, v26, v[18:19]
	v_add_co_u32_e64 v26, s[0:1], v60, v16
	v_mov_b32_e32 v25, v18
	v_addc_co_u32_e64 v27, s[0:1], v61, v17, s[0:1]
	v_lshlrev_b64 v[16:17], 4, v[24:25]
	v_mad_u64_u32 v[24:25], s[0:1], s2, v116, 0
	v_add_co_u32_e64 v28, s[0:1], v60, v16
	v_mov_b32_e32 v16, v25
	v_addc_co_u32_e64 v29, s[0:1], v61, v17, s[0:1]
	v_mad_u64_u32 v[30:31], s[0:1], s3, v116, v[16:17]
	v_mad_u64_u32 v[31:32], s[0:1], s2, v33, 0
	global_load_dwordx4 v[20:23], v[26:27], off
	global_load_dwordx4 v[16:19], v[28:29], off
	v_mov_b32_e32 v25, v30
	v_mov_b32_e32 v26, v32
	v_mad_u64_u32 v[26:27], s[0:1], s3, v33, v[26:27]
	v_lshlrev_b64 v[24:25], 4, v[24:25]
	v_add_u32_e32 v115, 0x1b0, v113
	v_add_co_u32_e64 v33, s[0:1], v60, v24
	v_mov_b32_e32 v32, v26
	v_add_u32_e32 v26, 0x558, v113
	v_addc_co_u32_e64 v34, s[0:1], v61, v25, s[0:1]
	v_mad_u64_u32 v[35:36], s[0:1], s2, v26, 0
	v_lshlrev_b64 v[24:25], 4, v[31:32]
	v_add_co_u32_e64 v37, s[0:1], v60, v24
	v_mov_b32_e32 v24, v36
	v_addc_co_u32_e64 v38, s[0:1], v61, v25, s[0:1]
	v_mad_u64_u32 v[39:40], s[0:1], s3, v26, v[24:25]
	v_mad_u64_u32 v[40:41], s[0:1], s2, v114, 0
	global_load_dwordx4 v[28:31], v[33:34], off
	global_load_dwordx4 v[24:27], v[37:38], off
	v_mov_b32_e32 v36, v39
	v_mov_b32_e32 v34, v41
	v_lshlrev_b64 v[32:33], 4, v[35:36]
	v_mad_u64_u32 v[34:35], s[0:1], s3, v114, v[34:35]
	v_add_u32_e32 v37, 0x384, v113
	v_mad_u64_u32 v[35:36], s[0:1], s2, v37, 0
	v_add_co_u32_e64 v62, s[0:1], v60, v32
	v_mov_b32_e32 v41, v34
	v_mov_b32_e32 v34, v36
	v_addc_co_u32_e64 v63, s[0:1], v61, v33, s[0:1]
	v_mad_u64_u32 v[36:37], s[0:1], s3, v37, v[34:35]
	v_add_u32_e32 v39, 0x5c4, v113
	v_mad_u64_u32 v[37:38], s[0:1], s2, v39, 0
	v_lshlrev_b64 v[32:33], 4, v[40:41]
	v_add_co_u32_e64 v64, s[0:1], v60, v32
	v_mov_b32_e32 v34, v38
	v_addc_co_u32_e64 v65, s[0:1], v61, v33, s[0:1]
	v_lshlrev_b64 v[32:33], 4, v[35:36]
	v_mad_u64_u32 v[34:35], s[0:1], s3, v39, v[34:35]
	v_mad_u64_u32 v[35:36], s[0:1], s2, v115, 0
	v_add_co_u32_e64 v66, s[0:1], v60, v32
	v_mov_b32_e32 v38, v34
	v_mov_b32_e32 v34, v36
	v_addc_co_u32_e64 v67, s[0:1], v61, v33, s[0:1]
	v_lshlrev_b64 v[32:33], 4, v[37:38]
	v_mad_u64_u32 v[36:37], s[0:1], s3, v115, v[34:35]
	v_add_u32_e32 v39, 0x3f0, v113
	v_mad_u64_u32 v[37:38], s[0:1], s2, v39, 0
	v_add_co_u32_e64 v68, s[0:1], v60, v32
	v_mov_b32_e32 v34, v38
	v_addc_co_u32_e64 v69, s[0:1], v61, v33, s[0:1]
	v_lshlrev_b64 v[32:33], 4, v[35:36]
	v_mad_u64_u32 v[34:35], s[0:1], s3, v39, v[34:35]
	v_add_u32_e32 v39, 0x630, v113
	v_mad_u64_u32 v[35:36], s[0:1], s2, v39, 0
	v_add_co_u32_e64 v70, s[0:1], v60, v32
	v_mov_b32_e32 v38, v34
	v_mov_b32_e32 v34, v36
	v_addc_co_u32_e64 v71, s[0:1], v61, v33, s[0:1]
	v_lshlrev_b64 v[32:33], 4, v[37:38]
	v_mad_u64_u32 v[36:37], s[0:1], s3, v39, v[34:35]
	v_add_co_u32_e64 v72, s[0:1], v60, v32
	v_addc_co_u32_e64 v73, s[0:1], v61, v33, s[0:1]
	v_lshlrev_b64 v[32:33], 4, v[35:36]
	v_add_co_u32_e64 v74, s[0:1], v60, v32
	v_addc_co_u32_e64 v75, s[0:1], v61, v33, s[0:1]
	global_load_dwordx4 v[56:59], v[62:63], off
	global_load_dwordx4 v[40:43], v[64:65], off
	;; [unrolled: 1-line block ×7, first 2 shown]
	v_cmp_gt_u32_e64 s[0:1], 36, v113
	s_and_saveexec_b64 s[8:9], s[0:1]
	s_cbranch_execz .LBB0_14
; %bb.13:
	v_add_u32_e32 v66, 0x21c, v113
	v_add_u32_e32 v68, 0x45c, v113
	v_mad_u64_u32 v[62:63], s[0:1], s2, v66, 0
	v_mad_u64_u32 v[64:65], s[0:1], s2, v68, 0
	;; [unrolled: 1-line block ×3, first 2 shown]
	v_mov_b32_e32 v63, v66
	v_mad_u64_u32 v[65:66], s[0:1], s3, v68, v[65:66]
	v_add_u32_e32 v68, 0x69c, v113
	v_mad_u64_u32 v[66:67], s[0:1], s2, v68, 0
	v_lshlrev_b64 v[62:63], 4, v[62:63]
	v_lshlrev_b64 v[64:65], 4, v[64:65]
	v_add_co_u32_e64 v62, s[0:1], v60, v62
	v_addc_co_u32_e64 v63, s[0:1], v61, v63, s[0:1]
	v_mad_u64_u32 v[67:68], s[0:1], s3, v68, v[67:68]
	v_add_co_u32_e64 v64, s[0:1], v60, v64
	v_addc_co_u32_e64 v65, s[0:1], v61, v65, s[0:1]
	global_load_dwordx4 v[78:81], v[62:63], off
	global_load_dwordx4 v[82:85], v[64:65], off
	v_lshlrev_b64 v[62:63], 4, v[66:67]
	v_add_co_u32_e64 v60, s[0:1], v60, v62
	v_addc_co_u32_e64 v61, s[0:1], v61, v63, s[0:1]
	global_load_dwordx4 v[86:89], v[60:61], off
.LBB0_14:
	s_or_b64 exec, exec, s[8:9]
	v_mov_b32_e32 v112, v113
.LBB0_15:
	s_or_b64 exec, exec, s[6:7]
	s_waitcnt vmcnt(12)
	v_add_f64 v[60:61], v[4:5], v[8:9]
	s_waitcnt vmcnt(9)
	v_add_f64 v[64:65], v[20:21], v[16:17]
	v_add_f64 v[62:63], v[4:5], v[0:1]
	v_add_f64 v[66:67], v[6:7], -v[10:11]
	v_add_f64 v[68:69], v[22:23], -v[18:19]
	s_waitcnt vmcnt(6)
	v_add_f64 v[70:71], v[24:25], v[56:57]
	s_mov_b32 s0, 0xe8584caa
	s_mov_b32 s1, 0x3febb67a
	v_fma_f64 v[0:1], v[60:61], -0.5, v[0:1]
	v_add_f64 v[60:61], v[12:13], v[20:21]
	v_fma_f64 v[12:13], v[64:65], -0.5, v[12:13]
	s_mov_b32 s3, 0xbfebb67a
	s_mov_b32 s2, s0
	v_add_f64 v[62:63], v[8:9], v[62:63]
	v_add_f64 v[72:73], v[26:27], -v[58:59]
	v_mad_u32_u24 v106, v113, 24, 0
	v_fma_f64 v[64:65], v[66:67], s[0:1], v[0:1]
	v_fma_f64 v[0:1], v[66:67], s[2:3], v[0:1]
	v_add_f64 v[66:67], v[24:25], v[28:29]
	v_fma_f64 v[28:29], v[70:71], -0.5, v[28:29]
	v_add_f64 v[60:61], v[60:61], v[16:17]
	v_fma_f64 v[70:71], v[68:69], s[0:1], v[12:13]
	v_fma_f64 v[12:13], v[68:69], s[2:3], v[12:13]
	v_mad_i32_i24 v104, v117, 24, 0
	ds_write2_b64 v106, v[62:63], v[64:65] offset1:1
	ds_write_b64 v106, v[0:1] offset:16
	s_waitcnt vmcnt(0)
	v_add_f64 v[64:65], v[86:87], v[82:83]
	v_add_f64 v[0:1], v[56:57], v[66:67]
	v_fma_f64 v[62:63], v[72:73], s[0:1], v[28:29]
	v_fma_f64 v[28:29], v[72:73], s[2:3], v[28:29]
	ds_write2_b64 v104, v[60:61], v[70:71] offset1:1
	v_add_f64 v[60:61], v[44:45], v[32:33]
	ds_write_b64 v104, v[12:13] offset:16
	v_add_f64 v[12:13], v[52:53], v[36:37]
	v_mad_i32_i24 v105, v116, 24, 0
	ds_write2_b64 v105, v[0:1], v[62:63] offset1:1
	ds_write_b64 v105, v[28:29] offset:16
	v_add_f64 v[0:1], v[44:45], v[40:41]
	v_fma_f64 v[62:63], v[64:65], -0.5, v[78:79]
	v_fma_f64 v[28:29], v[60:61], -0.5, v[40:41]
	v_add_f64 v[40:41], v[46:47], -v[34:35]
	v_fma_f64 v[12:13], v[12:13], -0.5, v[48:49]
	v_add_f64 v[60:61], v[54:55], -v[38:39]
	v_add_f64 v[48:49], v[48:49], v[52:53]
	v_add_f64 v[64:65], v[84:85], -v[88:89]
	v_add_f64 v[66:67], v[82:83], v[78:79]
	v_add_f64 v[0:1], v[32:33], v[0:1]
	v_fma_f64 v[68:69], v[40:41], s[0:1], v[28:29]
	v_fma_f64 v[40:41], v[40:41], s[2:3], v[28:29]
	;; [unrolled: 1-line block ×4, first 2 shown]
	v_add_f64 v[28:29], v[48:49], v[36:37]
	v_fma_f64 v[96:97], v[64:65], s[0:1], v[62:63]
	v_fma_f64 v[100:101], v[64:65], s[2:3], v[62:63]
	v_add_f64 v[102:103], v[86:87], v[66:67]
	v_mad_i32_i24 v12, v114, 24, 0
	ds_write2_b64 v12, v[0:1], v[68:69] offset1:1
	ds_write_b64 v12, v[40:41] offset:16
	v_mad_i32_i24 v0, v115, 24, 0
	v_cmp_gt_u32_e64 s[2:3], 36, v113
	ds_write2_b64 v0, v[28:29], v[98:99] offset1:1
	ds_write_b64 v0, v[94:95] offset:16
	s_and_saveexec_b64 s[0:1], s[2:3]
	s_cbranch_execz .LBB0_17
; %bb.16:
	v_add_u32_e32 v0, 0x32a0, v106
	ds_write2_b64 v0, v[102:103], v[96:97] offset1:1
	ds_write_b64 v106, v[100:101] offset:12976
.LBB0_17:
	s_or_b64 exec, exec, s[0:1]
	v_lshlrev_b32_e32 v1, 4, v113
	v_sub_u32_e32 v118, v106, v1
	v_add_u32_e32 v1, 0x800, v118
	s_waitcnt lgkmcnt(0)
	s_barrier
	ds_read2_b64 v[76:79], v1 offset0:32 offset1:140
	v_add_u32_e32 v1, 0x1000, v118
	ds_read2_b64 v[72:75], v1 offset0:64 offset1:172
	v_add_u32_e32 v1, 0x1800, v118
	;; [unrolled: 2-line block ×4, first 2 shown]
	v_lshlrev_b32_e32 v12, 4, v117
	ds_read2_b64 v[60:63], v1 offset0:32 offset1:140
	v_sub_u32_e32 v1, v104, v12
	ds_read_b64 v[48:49], v118
	ds_read_b64 v[40:41], v1
	s_movk_i32 s0, 0x48
	v_mul_i32_i24_e32 v0, 24, v114
	v_mul_i32_i24_e32 v1, 24, v115
	v_cmp_gt_u32_e64 s[0:1], s0, v113
	v_lshlrev_b32_e32 v107, 4, v116
	s_and_saveexec_b64 s[6:7], s[0:1]
	s_cbranch_execz .LBB0_19
; %bb.18:
	v_sub_u32_e32 v13, v105, v107
	ds_read_b64 v[98:99], v118 offset:4032
	ds_read_b64 v[94:95], v118 offset:6336
	;; [unrolled: 1-line block ×4, first 2 shown]
	ds_read_b64 v[28:29], v13
	ds_read_b64 v[100:101], v118 offset:13248
.LBB0_19:
	s_or_b64 exec, exec, s[6:7]
	v_add_f64 v[109:110], v[6:7], v[10:11]
	v_sub_u32_e32 v108, 0, v12
	v_add_f64 v[4:5], v[4:5], -v[8:9]
	v_add_f64 v[8:9], v[22:23], v[18:19]
	v_add_f64 v[12:13], v[26:27], v[58:59]
	;; [unrolled: 1-line block ×4, first 2 shown]
	v_add_f64 v[16:17], v[20:21], -v[16:17]
	v_fma_f64 v[2:3], v[109:110], -0.5, v[2:3]
	v_add_f64 v[20:21], v[26:27], v[30:31]
	s_mov_b32 s6, 0xe8584caa
	v_fma_f64 v[8:9], v[8:9], -0.5, v[14:15]
	v_fma_f64 v[12:13], v[12:13], -0.5, v[30:31]
	v_add_f64 v[14:15], v[24:25], -v[56:57]
	s_mov_b32 s7, 0xbfebb67a
	s_mov_b32 s9, 0x3febb67a
	;; [unrolled: 1-line block ×3, first 2 shown]
	v_add_f64 v[6:7], v[10:11], v[6:7]
	v_fma_f64 v[10:11], v[4:5], s[6:7], v[2:3]
	v_fma_f64 v[2:3], v[4:5], s[8:9], v[2:3]
	v_add_f64 v[4:5], v[22:23], v[18:19]
	v_add_f64 v[22:23], v[46:47], v[34:35]
	v_fma_f64 v[18:19], v[16:17], s[6:7], v[8:9]
	v_fma_f64 v[8:9], v[16:17], s[8:9], v[8:9]
	v_add_f64 v[16:17], v[58:59], v[20:21]
	;; [unrolled: 4-line block ×3, first 2 shown]
	v_add_f64 v[26:27], v[46:47], v[42:43]
	v_fma_f64 v[22:23], v[22:23], -0.5, v[42:43]
	v_add_f64 v[30:31], v[44:45], -v[32:33]
	v_add_f64 v[32:33], v[50:51], v[54:55]
	v_fma_f64 v[42:43], v[20:21], -0.5, v[50:51]
	v_add_f64 v[36:37], v[52:53], -v[36:37]
	;; [unrolled: 3-line block ×3, first 2 shown]
	v_add_f64 v[50:51], v[34:35], v[26:27]
	v_fma_f64 v[52:53], v[30:31], s[6:7], v[22:23]
	v_fma_f64 v[22:23], v[30:31], s[8:9], v[22:23]
	v_add_f64 v[20:21], v[32:33], v[38:39]
	v_fma_f64 v[34:35], v[36:37], s[6:7], v[42:43]
	v_fma_f64 v[26:27], v[36:37], s[8:9], v[42:43]
	;; [unrolled: 3-line block ×3, first 2 shown]
	v_add_u32_e32 v0, 0, v0
	s_waitcnt lgkmcnt(0)
	s_barrier
	ds_write2_b64 v106, v[6:7], v[10:11] offset1:1
	ds_write_b64 v106, v[2:3] offset:16
	ds_write2_b64 v104, v[4:5], v[18:19] offset1:1
	ds_write_b64 v104, v[8:9] offset:16
	;; [unrolled: 2-line block ×4, first 2 shown]
	v_add_u32_e32 v0, 0, v1
	ds_write2_b64 v0, v[20:21], v[34:35] offset1:1
	ds_write_b64 v0, v[26:27] offset:16
	s_and_saveexec_b64 s[6:7], s[2:3]
	s_cbranch_execz .LBB0_21
; %bb.20:
	v_add_u32_e32 v0, 0x21c, v113
	v_mad_u32_u24 v0, v0, 24, 0
	ds_write2_b64 v0, v[30:31], v[32:33] offset1:1
	ds_write_b64 v0, v[36:37] offset:16
.LBB0_21:
	s_or_b64 exec, exec, s[6:7]
	v_add_u32_e32 v0, 0x800, v118
	s_waitcnt lgkmcnt(0)
	s_barrier
	ds_read2_b64 v[16:19], v0 offset0:32 offset1:140
	v_add_u32_e32 v0, 0x1000, v118
	ds_read2_b64 v[12:15], v0 offset0:64 offset1:172
	v_add_u32_e32 v0, 0x1800, v118
	;; [unrolled: 2-line block ×5, first 2 shown]
	ds_read_b64 v[24:25], v118
	ds_read_b64 v[22:23], v119
	s_and_saveexec_b64 s[2:3], s[0:1]
	s_cbranch_execz .LBB0_23
; %bb.22:
	v_sub_u32_e32 v20, v105, v107
	ds_read_b64 v[34:35], v118 offset:4032
	ds_read_b64 v[26:27], v118 offset:6336
	;; [unrolled: 1-line block ×4, first 2 shown]
	ds_read_b64 v[20:21], v20
	ds_read_b64 v[36:37], v118 offset:13248
.LBB0_23:
	s_or_b64 exec, exec, s[2:3]
	s_movk_i32 s2, 0xab
	v_mul_lo_u16_sdwa v38, v113, s2 dst_sel:DWORD dst_unused:UNUSED_PAD src0_sel:BYTE_0 src1_sel:DWORD
	v_mul_lo_u16_sdwa v42, v117, s2 dst_sel:DWORD dst_unused:UNUSED_PAD src0_sel:BYTE_0 src1_sel:DWORD
	v_lshrrev_b16_e32 v44, 9, v38
	v_lshrrev_b16_e32 v184, 9, v42
	v_mul_lo_u16_e32 v38, 3, v44
	v_mul_lo_u16_e32 v42, 3, v184
	v_sub_u16_e32 v45, v113, v38
	v_mov_b32_e32 v38, 5
	v_sub_u16_e32 v185, v117, v42
	v_mul_u32_u24_sdwa v39, v45, v38 dst_sel:DWORD dst_unused:UNUSED_PAD src0_sel:BYTE_0 src1_sel:DWORD
	v_mul_u32_u24_sdwa v38, v185, v38 dst_sel:DWORD dst_unused:UNUSED_PAD src0_sel:BYTE_0 src1_sel:DWORD
	v_lshlrev_b32_e32 v39, 4, v39
	v_lshlrev_b32_e32 v38, 4, v38
	global_load_dwordx4 v[50:53], v39, s[12:13]
	global_load_dwordx4 v[54:57], v38, s[12:13]
	global_load_dwordx4 v[82:85], v39, s[12:13] offset:16
	global_load_dwordx4 v[104:107], v38, s[12:13] offset:16
	global_load_dwordx4 v[108:111], v38, s[12:13] offset:32
	global_load_dwordx4 v[120:123], v39, s[12:13] offset:32
	global_load_dwordx4 v[124:127], v39, s[12:13] offset:48
	global_load_dwordx4 v[132:135], v39, s[12:13] offset:64
	s_mov_b32 s2, 0xaaab
	v_mul_u32_u24_sdwa v42, v116, s2 dst_sel:DWORD dst_unused:UNUSED_PAD src0_sel:WORD_0 src1_sel:DWORD
	v_lshrrev_b32_e32 v186, 17, v42
	v_mul_lo_u16_e32 v42, 3, v186
	v_sub_u16_e32 v187, v116, v42
	v_mul_u32_u24_e32 v39, 5, v187
	global_load_dwordx4 v[128:131], v38, s[12:13] offset:48
	global_load_dwordx4 v[136:139], v38, s[12:13] offset:64
	v_lshlrev_b32_e32 v38, 4, v39
	global_load_dwordx4 v[140:143], v38, s[12:13]
	global_load_dwordx4 v[144:147], v38, s[12:13] offset:16
	global_load_dwordx4 v[148:151], v38, s[12:13] offset:32
	;; [unrolled: 1-line block ×4, first 2 shown]
	s_mov_b32 s2, 0xe8584caa
	s_mov_b32 s3, 0x3febb67a
	s_mov_b32 s7, 0xbfebb67a
	s_mov_b32 s6, s2
	s_waitcnt vmcnt(0) lgkmcnt(0)
	s_barrier
	v_mul_f64 v[46:47], v[18:19], v[56:57]
	v_mul_f64 v[58:59], v[72:73], v[84:85]
	;; [unrolled: 1-line block ×16, first 2 shown]
	v_fma_f64 v[80:81], v[16:17], v[50:51], v[42:43]
	v_fma_f64 v[16:17], v[78:79], v[54:55], -v[46:47]
	v_fma_f64 v[84:85], v[72:73], v[82:83], -v[56:57]
	v_fma_f64 v[86:87], v[12:13], v[82:83], v[58:59]
	v_fma_f64 v[12:13], v[68:69], v[120:121], -v[160:161]
	v_fma_f64 v[82:83], v[8:9], v[120:121], v[122:123]
	;; [unrolled: 2-line block ×6, first 2 shown]
	v_mul_f64 v[174:175], v[26:27], v[146:147]
	v_mul_f64 v[146:147], v[94:95], v[146:147]
	v_add_f64 v[18:19], v[12:13], v[4:5]
	v_add_f64 v[14:15], v[82:83], v[78:79]
	v_mul_f64 v[176:177], v[30:31], v[150:151]
	v_mul_f64 v[150:151], v[102:103], v[150:151]
	v_mul_f64 v[178:179], v[32:33], v[154:155]
	v_mul_f64 v[154:155], v[96:97], v[154:155]
	v_mul_f64 v[180:181], v[36:37], v[158:159]
	v_mul_f64 v[158:159], v[100:101], v[158:159]
	v_fma_f64 v[88:89], v[64:65], v[124:125], -v[164:165]
	v_add_f64 v[54:55], v[182:183], v[12:13]
	v_add_f64 v[56:57], v[82:83], -v[78:79]
	v_add_f64 v[12:13], v[12:13], -v[4:5]
	v_fma_f64 v[14:15], v[14:15], -0.5, v[80:81]
	v_fma_f64 v[18:19], v[18:19], -0.5, v[182:183]
	v_mul_f64 v[166:167], v[6:7], v[130:131]
	v_mul_f64 v[130:131], v[66:67], v[130:131]
	;; [unrolled: 1-line block ×4, first 2 shown]
	v_fma_f64 v[60:61], v[26:27], v[144:145], v[146:147]
	v_fma_f64 v[38:39], v[30:31], v[148:149], v[150:151]
	;; [unrolled: 1-line block ×4, first 2 shown]
	v_add_f64 v[50:51], v[84:85], v[88:89]
	v_fma_f64 v[32:33], v[12:13], s[6:7], v[14:15]
	v_fma_f64 v[36:37], v[56:57], s[6:7], v[18:19]
	v_mul_f64 v[172:173], v[34:35], v[142:143]
	v_mul_f64 v[142:143], v[98:99], v[142:143]
	v_fma_f64 v[68:69], v[10:11], v[108:109], v[110:111]
	v_fma_f64 v[66:67], v[66:67], v[128:129], -v[166:167]
	v_fma_f64 v[58:59], v[6:7], v[128:129], v[130:131]
	v_fma_f64 v[0:1], v[62:63], v[136:137], -v[170:171]
	;; [unrolled: 2-line block ×3, first 2 shown]
	v_fma_f64 v[10:11], v[100:101], v[156:157], -v[180:181]
	v_add_f64 v[46:47], v[48:49], v[84:85]
	v_add_f64 v[52:53], v[86:87], -v[70:71]
	v_fma_f64 v[48:49], v[50:51], -0.5, v[48:49]
	v_fma_f64 v[108:109], v[56:57], s[2:3], v[18:19]
	v_fma_f64 v[110:111], v[12:13], s[2:3], v[14:15]
	v_mul_f64 v[12:13], v[32:33], s[2:3]
	v_mul_f64 v[14:15], v[36:37], -0.5
	v_fma_f64 v[2:3], v[98:99], v[140:141], -v[172:173]
	v_fma_f64 v[34:35], v[34:35], v[140:141], v[142:143]
	v_fma_f64 v[64:65], v[96:97], v[152:153], -v[178:179]
	v_add_f64 v[96:97], v[72:73], v[66:67]
	v_add_f64 v[102:103], v[8:9], v[0:1]
	;; [unrolled: 1-line block ×5, first 2 shown]
	v_fma_f64 v[50:51], v[52:53], s[2:3], v[48:49]
	v_fma_f64 v[48:49], v[52:53], s[6:7], v[48:49]
	v_fma_f64 v[12:13], v[108:109], 0.5, v[12:13]
	v_fma_f64 v[14:15], v[110:111], s[2:3], v[14:15]
	v_fma_f64 v[42:43], v[94:95], v[144:145], -v[174:175]
	v_add_f64 v[94:95], v[40:41], v[72:73]
	v_add_f64 v[98:99], v[74:75], -v[58:59]
	v_add_f64 v[100:101], v[16:17], v[8:9]
	v_add_f64 v[104:105], v[68:69], -v[62:63]
	v_add_f64 v[8:9], v[8:9], -v[0:1]
	v_add_f64 v[46:47], v[46:47], v[88:89]
	v_add_f64 v[4:5], v[54:55], v[4:5]
	v_fma_f64 v[40:41], v[96:97], -0.5, v[40:41]
	v_fma_f64 v[16:17], v[102:103], -0.5, v[16:17]
	;; [unrolled: 1-line block ×3, first 2 shown]
	v_add_f64 v[124:125], v[50:51], v[12:13]
	v_add_f64 v[126:127], v[48:49], v[14:15]
	v_add_f64 v[12:13], v[50:51], -v[12:13]
	v_add_f64 v[14:15], v[48:49], -v[14:15]
	v_fma_f64 v[48:49], v[120:121], -0.5, v[2:3]
	v_fma_f64 v[18:19], v[18:19], -0.5, v[34:35]
	v_add_f64 v[50:51], v[6:7], -v[10:11]
	v_add_f64 v[56:57], v[38:39], -v[26:27]
	v_add_f64 v[52:53], v[94:95], v[66:67]
	v_add_f64 v[122:123], v[46:47], v[4:5]
	v_add_f64 v[4:5], v[46:47], -v[4:5]
	v_fma_f64 v[46:47], v[98:99], s[2:3], v[40:41]
	v_fma_f64 v[40:41], v[98:99], s[6:7], v[40:41]
	v_add_f64 v[0:1], v[100:101], v[0:1]
	v_fma_f64 v[94:95], v[104:105], s[6:7], v[16:17]
	v_fma_f64 v[96:97], v[8:9], s[6:7], v[54:55]
	;; [unrolled: 1-line block ×3, first 2 shown]
	v_add_f64 v[16:17], v[42:43], v[64:65]
	v_fma_f64 v[100:101], v[50:51], s[6:7], v[18:19]
	v_fma_f64 v[98:99], v[56:57], s[6:7], v[48:49]
	;; [unrolled: 1-line block ×3, first 2 shown]
	v_add_f64 v[128:129], v[28:29], v[42:43]
	v_mul_f64 v[120:121], v[94:95], -0.5
	v_mul_f64 v[54:55], v[96:97], s[2:3]
	v_add_f64 v[130:131], v[60:61], -v[30:31]
	v_fma_f64 v[16:17], v[16:17], -0.5, v[28:29]
	v_add_f64 v[2:3], v[2:3], v[6:7]
	v_fma_f64 v[106:107], v[56:57], s[2:3], v[48:49]
	v_fma_f64 v[28:29], v[50:51], s[2:3], v[18:19]
	v_mul_f64 v[6:7], v[100:101], s[2:3]
	v_mul_f64 v[18:19], v[98:99], -0.5
	v_fma_f64 v[48:49], v[102:103], 0.5, v[54:55]
	v_fma_f64 v[50:51], v[104:105], s[2:3], v[120:121]
	v_add_f64 v[54:55], v[128:129], v[64:65]
	v_fma_f64 v[56:57], v[130:131], s[2:3], v[16:17]
	v_fma_f64 v[16:17], v[130:131], s[6:7], v[16:17]
	v_add_f64 v[2:3], v[2:3], v[10:11]
	v_fma_f64 v[6:7], v[106:107], 0.5, v[6:7]
	v_fma_f64 v[10:11], v[28:29], s[2:3], v[18:19]
	v_add_f64 v[8:9], v[52:53], v[0:1]
	v_add_f64 v[18:19], v[46:47], v[48:49]
	;; [unrolled: 1-line block ×3, first 2 shown]
	v_add_f64 v[0:1], v[52:53], -v[0:1]
	v_add_f64 v[46:47], v[46:47], -v[48:49]
	;; [unrolled: 1-line block ×3, first 2 shown]
	v_add_f64 v[40:41], v[54:55], v[2:3]
	v_add_f64 v[48:49], v[56:57], v[6:7]
	;; [unrolled: 1-line block ×3, first 2 shown]
	v_add_f64 v[54:55], v[54:55], -v[2:3]
	v_add_f64 v[52:53], v[56:57], -v[6:7]
	;; [unrolled: 1-line block ×3, first 2 shown]
	v_mov_b32_e32 v3, 3
	v_mul_u32_u24_e32 v2, 0x90, v44
	v_lshlrev_b32_sdwa v6, v3, v45 dst_sel:DWORD dst_unused:UNUSED_PAD src0_sel:DWORD src1_sel:BYTE_0
	v_add3_u32 v121, 0, v2, v6
	v_mul_u32_u24_e32 v2, 0x90, v184
	v_lshlrev_b32_sdwa v3, v3, v185 dst_sel:DWORD dst_unused:UNUSED_PAD src0_sel:DWORD src1_sel:BYTE_0
	ds_write2_b64 v121, v[122:123], v[124:125] offset1:3
	ds_write2_b64 v121, v[126:127], v[4:5] offset0:6 offset1:9
	ds_write2_b64 v121, v[12:13], v[14:15] offset0:12 offset1:15
	v_add3_u32 v124, 0, v2, v3
	v_mul_lo_u16_e32 v122, 18, v186
	v_lshlrev_b32_e32 v123, 3, v187
	ds_write2_b64 v124, v[8:9], v[18:19] offset1:3
	ds_write2_b64 v124, v[128:129], v[0:1] offset0:6 offset1:9
	ds_write2_b64 v124, v[46:47], v[130:131] offset0:12 offset1:15
	s_and_saveexec_b64 s[2:3], s[0:1]
	s_cbranch_execz .LBB0_25
; %bb.24:
	v_lshlrev_b32_e32 v0, 3, v122
	v_add3_u32 v0, 0, v123, v0
	ds_write2_b64 v0, v[40:41], v[48:49] offset1:3
	ds_write2_b64 v0, v[50:51], v[54:55] offset0:6 offset1:9
	ds_write2_b64 v0, v[52:53], v[56:57] offset0:12 offset1:15
.LBB0_25:
	s_or_b64 exec, exec, s[2:3]
	v_add_u32_e32 v0, 0x800, v118
	v_add_u32_e32 v4, 0x1000, v118
	;; [unrolled: 1-line block ×5, first 2 shown]
	s_waitcnt lgkmcnt(0)
	s_barrier
	ds_read2_b64 v[0:3], v0 offset0:32 offset1:140
	ds_read2_b64 v[4:7], v4 offset0:64 offset1:172
	;; [unrolled: 1-line block ×5, first 2 shown]
	ds_read_b64 v[46:47], v118
	ds_read_b64 v[44:45], v119
	v_lshl_add_u32 v120, v116, 3, 0
	s_and_saveexec_b64 s[2:3], s[0:1]
	s_cbranch_execz .LBB0_27
; %bb.26:
	ds_read_b64 v[48:49], v118 offset:4032
	ds_read_b64 v[50:51], v118 offset:6336
	;; [unrolled: 1-line block ×4, first 2 shown]
	ds_read_b64 v[40:41], v120
	ds_read_b64 v[56:57], v118 offset:13248
.LBB0_27:
	s_or_b64 exec, exec, s[2:3]
	v_add_f64 v[125:126], v[86:87], v[70:71]
	v_add_f64 v[86:87], v[24:25], v[86:87]
	v_add_f64 v[84:85], v[84:85], -v[88:89]
	v_add_f64 v[80:81], v[80:81], v[82:83]
	v_mul_f64 v[82:83], v[110:111], -0.5
	s_mov_b32 s2, 0xe8584caa
	s_mov_b32 s3, 0xbfebb67a
	;; [unrolled: 1-line block ×3, first 2 shown]
	v_fma_f64 v[24:25], v[125:126], -0.5, v[24:25]
	s_mov_b32 s6, s2
	v_mul_f64 v[88:89], v[108:109], s[2:3]
	v_add_f64 v[108:109], v[74:75], v[58:59]
	v_add_f64 v[78:79], v[80:81], v[78:79]
	v_fma_f64 v[36:37], v[36:37], s[2:3], v[82:83]
	v_add_f64 v[70:71], v[86:87], v[70:71]
	v_add_f64 v[74:75], v[22:23], v[74:75]
	v_fma_f64 v[80:81], v[84:85], s[2:3], v[24:25]
	v_fma_f64 v[24:25], v[84:85], s[6:7], v[24:25]
	v_add_f64 v[66:67], v[72:73], -v[66:67]
	v_add_f64 v[68:69], v[76:77], v[68:69]
	v_fma_f64 v[22:23], v[108:109], -0.5, v[22:23]
	v_add_f64 v[34:35], v[34:35], v[38:39]
	v_add_f64 v[72:73], v[70:71], v[78:79]
	v_add_f64 v[78:79], v[70:71], -v[78:79]
	v_mul_f64 v[70:71], v[104:105], -0.5
	v_add_f64 v[82:83], v[24:25], v[36:37]
	v_add_f64 v[24:25], v[24:25], -v[36:37]
	v_add_f64 v[36:37], v[60:61], v[30:31]
	v_add_f64 v[62:63], v[68:69], v[62:63]
	v_fma_f64 v[68:69], v[66:67], s[2:3], v[22:23]
	v_fma_f64 v[22:23], v[66:67], s[6:7], v[22:23]
	v_mul_f64 v[66:67], v[102:103], s[2:3]
	v_add_f64 v[60:61], v[20:21], v[60:61]
	v_mul_f64 v[38:39], v[106:107], s[2:3]
	v_mul_f64 v[28:29], v[28:29], -0.5
	v_fma_f64 v[20:21], v[36:37], -0.5, v[20:21]
	v_add_f64 v[36:37], v[42:43], -v[64:65]
	v_fma_f64 v[32:33], v[32:33], 0.5, v[88:89]
	v_add_f64 v[58:59], v[74:75], v[58:59]
	v_fma_f64 v[42:43], v[96:97], 0.5, v[66:67]
	v_fma_f64 v[64:65], v[94:95], s[2:3], v[70:71]
	v_add_f64 v[30:31], v[60:61], v[30:31]
	v_add_f64 v[26:27], v[34:35], v[26:27]
	v_fma_f64 v[34:35], v[100:101], 0.5, v[38:39]
	v_fma_f64 v[60:61], v[36:37], s[2:3], v[20:21]
	v_fma_f64 v[20:21], v[36:37], s[6:7], v[20:21]
	;; [unrolled: 1-line block ×3, first 2 shown]
	v_add_f64 v[76:77], v[80:81], v[32:33]
	v_add_f64 v[32:33], v[80:81], -v[32:33]
	v_add_f64 v[74:75], v[58:59], v[62:63]
	v_add_f64 v[36:37], v[68:69], v[42:43]
	;; [unrolled: 1-line block ×3, first 2 shown]
	v_add_f64 v[58:59], v[58:59], -v[62:63]
	v_add_f64 v[80:81], v[68:69], -v[42:43]
	;; [unrolled: 1-line block ×3, first 2 shown]
	v_add_f64 v[42:43], v[30:31], v[26:27]
	v_add_f64 v[62:63], v[60:61], v[34:35]
	;; [unrolled: 1-line block ×3, first 2 shown]
	v_add_f64 v[68:69], v[30:31], -v[26:27]
	v_add_f64 v[66:67], v[60:61], -v[34:35]
	;; [unrolled: 1-line block ×3, first 2 shown]
	s_waitcnt lgkmcnt(0)
	s_barrier
	ds_write2_b64 v121, v[72:73], v[76:77] offset1:3
	ds_write2_b64 v121, v[82:83], v[78:79] offset0:6 offset1:9
	ds_write2_b64 v121, v[32:33], v[24:25] offset0:12 offset1:15
	ds_write2_b64 v124, v[74:75], v[36:37] offset1:3
	ds_write2_b64 v124, v[38:39], v[58:59] offset0:6 offset1:9
	ds_write2_b64 v124, v[80:81], v[22:23] offset0:12 offset1:15
	s_and_saveexec_b64 s[2:3], s[0:1]
	s_cbranch_execz .LBB0_29
; %bb.28:
	v_lshlrev_b32_e32 v20, 3, v122
	v_add3_u32 v20, 0, v123, v20
	ds_write2_b64 v20, v[42:43], v[62:63] offset1:3
	ds_write2_b64 v20, v[64:65], v[68:69] offset0:6 offset1:9
	ds_write2_b64 v20, v[66:67], v[70:71] offset0:12 offset1:15
.LBB0_29:
	s_or_b64 exec, exec, s[2:3]
	v_add_u32_e32 v20, 0x800, v118
	v_add_u32_e32 v24, 0x1000, v118
	;; [unrolled: 1-line block ×5, first 2 shown]
	s_waitcnt lgkmcnt(0)
	s_barrier
	ds_read2_b64 v[20:23], v20 offset0:32 offset1:140
	ds_read2_b64 v[24:27], v24 offset0:64 offset1:172
	;; [unrolled: 1-line block ×5, first 2 shown]
	ds_read_b64 v[60:61], v118
	ds_read_b64 v[58:59], v119
	s_and_saveexec_b64 s[2:3], s[0:1]
	s_cbranch_execz .LBB0_31
; %bb.30:
	ds_read_b64 v[62:63], v118 offset:4032
	ds_read_b64 v[64:65], v118 offset:6336
	;; [unrolled: 1-line block ×4, first 2 shown]
	ds_read_b64 v[42:43], v120
	ds_read_b64 v[70:71], v118 offset:13248
.LBB0_31:
	s_or_b64 exec, exec, s[2:3]
	v_mov_b32_e32 v80, 57
	v_mul_lo_u16_sdwa v72, v113, v80 dst_sel:DWORD dst_unused:UNUSED_PAD src0_sel:BYTE_0 src1_sel:DWORD
	v_lshrrev_b16_e32 v89, 10, v72
	v_mul_lo_u16_e32 v72, 18, v89
	v_sub_u16_e32 v175, v113, v72
	v_mov_b32_e32 v98, 5
	v_mul_u32_u24_sdwa v72, v175, v98 dst_sel:DWORD dst_unused:UNUSED_PAD src0_sel:BYTE_0 src1_sel:DWORD
	v_lshlrev_b32_e32 v99, 4, v72
	global_load_dwordx4 v[76:79], v99, s[12:13] offset:288
	global_load_dwordx4 v[81:84], v99, s[12:13] offset:272
	global_load_dwordx4 v[85:88], v99, s[12:13] offset:256
	global_load_dwordx4 v[72:75], v99, s[12:13] offset:240
	global_load_dwordx4 v[94:97], v99, s[12:13] offset:304
	v_mul_lo_u16_sdwa v80, v117, v80 dst_sel:DWORD dst_unused:UNUSED_PAD src0_sel:BYTE_0 src1_sel:DWORD
	v_lshrrev_b16_e32 v176, 10, v80
	v_mul_lo_u16_e32 v80, 18, v176
	v_sub_u16_e32 v177, v117, v80
	v_mul_u32_u24_sdwa v80, v177, v98 dst_sel:DWORD dst_unused:UNUSED_PAD src0_sel:BYTE_0 src1_sel:DWORD
	v_lshlrev_b32_e32 v80, 4, v80
	global_load_dwordx4 v[98:101], v80, s[12:13] offset:272
	global_load_dwordx4 v[102:105], v80, s[12:13] offset:256
	;; [unrolled: 1-line block ×5, first 2 shown]
	s_mov_b32 s2, 0xe38f
	v_mul_u32_u24_sdwa v80, v116, s2 dst_sel:DWORD dst_unused:UNUSED_PAD src0_sel:WORD_0 src1_sel:DWORD
	v_lshrrev_b32_e32 v80, 20, v80
	v_mul_lo_u16_e32 v110, 18, v80
	v_sub_u16_e32 v178, v116, v110
	v_mul_u32_u24_e32 v110, 5, v178
	v_lshlrev_b32_e32 v110, 4, v110
	global_load_dwordx4 v[129:132], v110, s[12:13] offset:240
	global_load_dwordx4 v[133:136], v110, s[12:13] offset:256
	;; [unrolled: 1-line block ×5, first 2 shown]
	s_mov_b32 s2, 0xe8584caa
	s_mov_b32 s3, 0x3febb67a
	;; [unrolled: 1-line block ×4, first 2 shown]
	s_waitcnt vmcnt(0) lgkmcnt(0)
	s_barrier
	v_mul_f64 v[151:152], v[32:33], v[78:79]
	v_mul_f64 v[149:150], v[28:29], v[83:84]
	;; [unrolled: 1-line block ×12, first 2 shown]
	v_fma_f64 v[20:21], v[20:21], v[72:73], v[74:75]
	v_fma_f64 v[74:75], v[24:25], v[85:86], v[87:88]
	;; [unrolled: 1-line block ×3, first 2 shown]
	v_fma_f64 v[28:29], v[12:13], v[76:77], -v[151:152]
	v_fma_f64 v[12:13], v[36:37], v[94:95], v[96:97]
	v_mul_f64 v[108:109], v[2:3], v[108:109]
	v_mul_f64 v[159:160], v[30:31], v[100:101]
	;; [unrolled: 1-line block ×10, first 2 shown]
	v_fma_f64 v[110:111], v[0:1], v[72:73], -v[110:111]
	v_fma_f64 v[72:73], v[4:5], v[85:86], -v[116:117]
	;; [unrolled: 1-line block ×5, first 2 shown]
	v_add_f64 v[18:19], v[24:25], v[12:13]
	v_mul_f64 v[157:158], v[26:27], v[104:105]
	v_mul_f64 v[104:105], v[6:7], v[104:105]
	;; [unrolled: 1-line block ×7, first 2 shown]
	v_fma_f64 v[8:9], v[32:33], v[76:77], v[78:79]
	v_fma_f64 v[83:84], v[2:3], v[106:107], -v[155:156]
	v_fma_f64 v[4:5], v[22:23], v[106:107], v[108:109]
	v_fma_f64 v[78:79], v[10:11], v[98:99], -v[159:160]
	v_fma_f64 v[10:11], v[30:31], v[98:99], v[100:101]
	v_fma_f64 v[2:3], v[34:35], v[121:122], v[123:124]
	;; [unrolled: 1-line block ×5, first 2 shown]
	v_add_f64 v[22:23], v[85:86], v[81:82]
	v_add_f64 v[68:69], v[85:86], -v[81:82]
	v_fma_f64 v[70:71], v[18:19], -0.5, v[20:21]
	v_mul_f64 v[131:132], v[48:49], v[131:132]
	v_fma_f64 v[6:7], v[6:7], v[102:103], -v[157:158]
	v_fma_f64 v[16:17], v[26:27], v[102:103], v[104:105]
	v_fma_f64 v[26:27], v[48:49], v[129:130], -v[165:166]
	v_fma_f64 v[48:49], v[50:51], v[133:134], -v[167:168]
	v_fma_f64 v[50:51], v[64:65], v[133:134], v[135:136]
	v_fma_f64 v[76:77], v[54:55], v[137:138], -v[169:170]
	v_fma_f64 v[32:33], v[66:67], v[141:142], v[143:144]
	v_add_f64 v[30:31], v[46:47], v[72:73]
	v_add_f64 v[54:55], v[72:73], v[28:29]
	v_add_f64 v[64:65], v[110:111], v[85:86]
	v_add_f64 v[66:67], v[24:25], -v[12:13]
	v_fma_f64 v[94:95], v[22:23], -0.5, v[110:111]
	v_add_f64 v[102:103], v[10:11], v[0:1]
	v_add_f64 v[104:105], v[78:79], v[87:88]
	v_fma_f64 v[22:23], v[68:69], s[6:7], v[70:71]
	v_fma_f64 v[14:15], v[14:15], v[121:122], -v[161:162]
	v_fma_f64 v[36:37], v[62:63], v[129:130], v[131:132]
	v_fma_f64 v[62:63], v[56:57], v[145:146], -v[173:174]
	v_add_f64 v[56:57], v[74:75], -v[8:9]
	v_add_f64 v[100:101], v[83:84], v[78:79]
	v_add_f64 v[106:107], v[10:11], -v[0:1]
	v_fma_f64 v[18:19], v[66:67], s[6:7], v[94:95]
	v_add_f64 v[108:109], v[78:79], -v[87:88]
	v_add_f64 v[110:111], v[30:31], v[28:29]
	v_fma_f64 v[30:31], v[54:55], -0.5, v[46:47]
	v_fma_f64 v[46:47], v[102:103], -0.5, v[4:5]
	v_fma_f64 v[78:79], v[66:67], s[2:3], v[94:95]
	v_fma_f64 v[68:69], v[68:69], s[2:3], v[70:71]
	v_mul_f64 v[54:55], v[22:23], s[2:3]
	v_add_f64 v[70:71], v[64:65], v[81:82]
	v_fma_f64 v[81:82], v[104:105], -0.5, v[83:84]
	v_add_f64 v[85:86], v[44:45], v[6:7]
	v_add_f64 v[96:97], v[6:7], v[14:15]
	v_mul_f64 v[66:67], v[18:19], -0.5
	v_fma_f64 v[83:84], v[56:57], s[2:3], v[30:31]
	v_fma_f64 v[56:57], v[56:57], s[6:7], v[30:31]
	v_fma_f64 v[30:31], v[108:109], s[6:7], v[46:47]
	v_fma_f64 v[54:55], v[78:79], 0.5, v[54:55]
	v_fma_f64 v[64:65], v[106:107], s[6:7], v[81:82]
	v_add_f64 v[98:99], v[16:17], -v[2:3]
	v_fma_f64 v[44:45], v[96:97], -0.5, v[44:45]
	v_fma_f64 v[94:95], v[68:69], s[2:3], v[66:67]
	v_add_f64 v[96:97], v[110:111], v[70:71]
	v_add_f64 v[102:103], v[110:111], -v[70:71]
	v_fma_f64 v[70:71], v[106:107], s[2:3], v[81:82]
	v_fma_f64 v[66:67], v[108:109], s[2:3], v[46:47]
	v_mul_f64 v[46:47], v[30:31], s[2:3]
	v_add_f64 v[104:105], v[83:84], v[54:55]
	v_add_f64 v[83:84], v[83:84], -v[54:55]
	v_mul_f64 v[54:55], v[64:65], -0.5
	v_add_f64 v[81:82], v[85:86], v[14:15]
	v_add_f64 v[85:86], v[100:101], v[87:88]
	;; [unrolled: 1-line block ×5, first 2 shown]
	v_fma_f64 v[100:101], v[98:99], s[2:3], v[44:45]
	v_fma_f64 v[44:45], v[98:99], s[6:7], v[44:45]
	v_fma_f64 v[46:47], v[70:71], 0.5, v[46:47]
	v_fma_f64 v[54:55], v[66:67], s[2:3], v[54:55]
	v_add_f64 v[94:95], v[56:57], -v[94:95]
	v_fma_f64 v[56:57], v[87:88], -0.5, v[26:27]
	v_add_f64 v[87:88], v[38:39], -v[34:35]
	v_fma_f64 v[108:109], v[108:109], -0.5, v[36:37]
	v_add_f64 v[110:111], v[76:77], -v[62:63]
	v_fma_f64 v[52:53], v[52:53], v[141:142], -v[171:172]
	v_add_f64 v[98:99], v[81:82], v[85:86]
	v_add_f64 v[116:117], v[100:101], v[46:47]
	;; [unrolled: 1-line block ×3, first 2 shown]
	v_add_f64 v[100:101], v[100:101], -v[46:47]
	v_add_f64 v[123:124], v[44:45], -v[54:55]
	v_fma_f64 v[54:55], v[87:88], s[2:3], v[56:57]
	v_fma_f64 v[44:45], v[87:88], s[6:7], v[56:57]
	;; [unrolled: 1-line block ×4, first 2 shown]
	v_add_f64 v[85:86], v[81:82], -v[85:86]
	v_mov_b32_e32 v87, 3
	v_mul_u32_u24_e32 v81, 0x360, v89
	v_lshlrev_b32_sdwa v82, v87, v175 dst_sel:DWORD dst_unused:UNUSED_PAD src0_sel:DWORD src1_sel:BYTE_0
	v_add3_u32 v82, 0, v81, v82
	ds_write2_b64 v82, v[96:97], v[104:105] offset1:18
	ds_write2_b64 v82, v[106:107], v[102:103] offset0:36 offset1:54
	ds_write2_b64 v82, v[83:84], v[94:95] offset0:72 offset1:90
	v_mul_u32_u24_e32 v81, 0x360, v176
	v_lshlrev_b32_sdwa v83, v87, v177 dst_sel:DWORD dst_unused:UNUSED_PAD src0_sel:DWORD src1_sel:BYTE_0
	v_add3_u32 v83, 0, v81, v83
	v_lshlrev_b32_e32 v81, 3, v178
	ds_write2_b64 v83, v[98:99], v[116:117] offset1:18
	ds_write2_b64 v83, v[121:122], v[85:86] offset0:36 offset1:54
	ds_write2_b64 v83, v[100:101], v[123:124] offset0:72 offset1:90
	s_and_saveexec_b64 s[8:9], s[0:1]
	s_cbranch_execz .LBB0_33
; %bb.32:
	v_add_f64 v[84:85], v[48:49], v[52:53]
	v_add_f64 v[86:87], v[50:51], -v[32:33]
	v_mul_f64 v[88:89], v[44:45], -0.5
	v_add_f64 v[94:95], v[40:41], v[48:49]
	v_add_f64 v[26:27], v[26:27], v[76:77]
	v_mul_f64 v[76:77], v[46:47], s[2:3]
	v_fma_f64 v[40:41], v[84:85], -0.5, v[40:41]
	v_fma_f64 v[84:85], v[56:57], s[2:3], v[88:89]
	v_add_f64 v[88:89], v[94:95], v[52:53]
	v_add_f64 v[26:27], v[26:27], v[62:63]
	v_fma_f64 v[62:63], v[54:55], 0.5, v[76:77]
	v_fma_f64 v[76:77], v[86:87], s[6:7], v[40:41]
	v_fma_f64 v[40:41], v[86:87], s[2:3], v[40:41]
	v_add_f64 v[86:87], v[88:89], -v[26:27]
	v_add_f64 v[26:27], v[88:89], v[26:27]
	v_add_f64 v[88:89], v[76:77], -v[84:85]
	v_add_f64 v[94:95], v[40:41], v[62:63]
	v_add_f64 v[76:77], v[76:77], v[84:85]
	v_add_f64 v[40:41], v[40:41], -v[62:63]
	v_mul_lo_u16_e32 v62, 0x6c, v80
	v_lshlrev_b32_e32 v62, 3, v62
	v_add3_u32 v62, 0, v81, v62
	ds_write2_b64 v62, v[26:27], v[94:95] offset1:18
	ds_write2_b64 v62, v[76:77], v[86:87] offset0:36 offset1:54
	ds_write2_b64 v62, v[40:41], v[88:89] offset0:72 offset1:90
.LBB0_33:
	s_or_b64 exec, exec, s[8:9]
	v_add_f64 v[26:27], v[74:75], v[8:9]
	v_add_f64 v[20:21], v[20:21], v[24:25]
	;; [unrolled: 1-line block ×3, first 2 shown]
	v_add_f64 v[24:25], v[72:73], -v[28:29]
	v_add_f64 v[62:63], v[16:17], v[2:3]
	v_mul_f64 v[28:29], v[78:79], s[6:7]
	v_add_f64 v[16:17], v[58:59], v[16:17]
	v_add_f64 v[4:5], v[4:5], v[10:11]
	v_fma_f64 v[26:27], v[26:27], -0.5, v[60:61]
	v_add_f64 v[12:13], v[20:21], v[12:13]
	v_mul_f64 v[20:21], v[68:69], -0.5
	v_add_f64 v[8:9], v[40:41], v[8:9]
	v_add_f64 v[6:7], v[6:7], -v[14:15]
	v_fma_f64 v[10:11], v[62:63], -0.5, v[58:59]
	v_mul_f64 v[40:41], v[66:67], -0.5
	v_fma_f64 v[22:23], v[22:23], 0.5, v[28:29]
	v_fma_f64 v[14:15], v[24:25], s[6:7], v[26:27]
	v_fma_f64 v[24:25], v[24:25], s[2:3], v[26:27]
	v_mul_f64 v[26:27], v[70:71], s[6:7]
	v_fma_f64 v[18:19], v[18:19], s[6:7], v[20:21]
	v_add_f64 v[2:3], v[16:17], v[2:3]
	v_add_f64 v[0:1], v[4:5], v[0:1]
	v_fma_f64 v[16:17], v[6:7], s[6:7], v[10:11]
	v_fma_f64 v[6:7], v[6:7], s[2:3], v[10:11]
	;; [unrolled: 1-line block ×3, first 2 shown]
	v_add_f64 v[59:60], v[8:9], v[12:13]
	v_fma_f64 v[4:5], v[30:31], 0.5, v[26:27]
	v_add_f64 v[61:62], v[14:15], v[22:23]
	v_add_f64 v[63:64], v[24:25], v[18:19]
	v_add_f64 v[65:66], v[8:9], -v[12:13]
	v_add_f64 v[67:68], v[14:15], -v[22:23]
	;; [unrolled: 1-line block ×3, first 2 shown]
	v_add_f64 v[71:72], v[2:3], v[0:1]
	v_add_f64 v[77:78], v[2:3], -v[0:1]
	s_waitcnt lgkmcnt(0)
	s_barrier
	ds_read_b64 v[24:25], v119
	ds_read_b64 v[28:29], v120
	v_lshl_add_u32 v40, v114, 3, 0
	v_lshl_add_u32 v41, v115, 3, 0
	;; [unrolled: 1-line block ×3, first 2 shown]
	ds_read_b64 v[20:21], v118
	ds_read_b64 v[26:27], v40
	;; [unrolled: 1-line block ×3, first 2 shown]
	ds_read_b64 v[22:23], v58 offset:4320
	v_add_u32_e32 v0, 0x1000, v118
	v_add_u32_e32 v8, 0x2000, v118
	v_add_f64 v[73:74], v[16:17], v[4:5]
	v_add_f64 v[75:76], v[6:7], v[10:11]
	v_add_f64 v[84:85], v[16:17], -v[4:5]
	v_add_f64 v[86:87], v[6:7], -v[10:11]
	ds_read2_b64 v[4:7], v0 offset0:136 offset1:244
	v_add_u32_e32 v0, 0x1800, v118
	ds_read2_b64 v[16:19], v8 offset0:56 offset1:164
	v_add_u32_e32 v8, 0x2800, v118
	v_add_u32_e32 v12, 0x2c00, v118
	ds_read2_b64 v[0:3], v0 offset0:96 offset1:204
	ds_read2_b64 v[8:11], v8 offset0:16 offset1:124
	;; [unrolled: 1-line block ×3, first 2 shown]
	s_waitcnt lgkmcnt(0)
	s_barrier
	ds_write2_b64 v82, v[59:60], v[61:62] offset1:18
	ds_write2_b64 v82, v[63:64], v[65:66] offset0:36 offset1:54
	ds_write2_b64 v82, v[67:68], v[69:70] offset0:72 offset1:90
	ds_write2_b64 v83, v[71:72], v[73:74] offset1:18
	ds_write2_b64 v83, v[75:76], v[77:78] offset0:36 offset1:54
	ds_write2_b64 v83, v[84:85], v[86:87] offset0:72 offset1:90
	s_and_saveexec_b64 s[2:3], s[0:1]
	s_cbranch_execz .LBB0_35
; %bb.34:
	v_add_f64 v[59:60], v[50:51], v[32:33]
	s_mov_b32 s0, 0xe8584caa
	s_mov_b32 s1, 0xbfebb67a
	v_add_f64 v[50:51], v[42:43], v[50:51]
	v_add_f64 v[48:49], v[48:49], -v[52:53]
	v_add_f64 v[36:37], v[36:37], v[38:39]
	v_mul_f64 v[38:39], v[56:57], -0.5
	v_mul_f64 v[52:53], v[54:55], s[0:1]
	v_fma_f64 v[42:43], v[59:60], -0.5, v[42:43]
	s_mov_b32 s7, 0x3febb67a
	s_mov_b32 s6, s0
	v_add_f64 v[32:33], v[50:51], v[32:33]
	v_add_f64 v[34:35], v[36:37], v[34:35]
	v_fma_f64 v[36:37], v[44:45], s[0:1], v[38:39]
	v_fma_f64 v[38:39], v[46:47], 0.5, v[52:53]
	v_fma_f64 v[44:45], v[48:49], s[0:1], v[42:43]
	v_fma_f64 v[42:43], v[48:49], s[6:7], v[42:43]
	v_add_f64 v[46:47], v[32:33], v[34:35]
	v_add_f64 v[32:33], v[32:33], -v[34:35]
	v_add_f64 v[34:35], v[44:45], v[38:39]
	v_add_f64 v[48:49], v[42:43], v[36:37]
	v_add_f64 v[38:39], v[44:45], -v[38:39]
	v_add_f64 v[36:37], v[42:43], -v[36:37]
	v_mul_lo_u16_e32 v42, 0x6c, v80
	v_lshlrev_b32_e32 v42, 3, v42
	v_add3_u32 v42, 0, v81, v42
	ds_write2_b64 v42, v[46:47], v[34:35] offset1:18
	ds_write2_b64 v42, v[48:49], v[32:33] offset0:36 offset1:54
	ds_write2_b64 v42, v[38:39], v[36:37] offset0:72 offset1:90
.LBB0_35:
	s_or_b64 exec, exec, s[2:3]
	s_waitcnt lgkmcnt(0)
	s_barrier
	s_and_saveexec_b64 s[0:1], vcc
	s_cbranch_execz .LBB0_37
; %bb.36:
	v_mul_u32_u24_e32 v32, 15, v113
	v_lshlrev_b32_e32 v87, 4, v32
	global_load_dwordx4 v[32:35], v87, s[12:13] offset:1696
	global_load_dwordx4 v[36:39], v87, s[12:13] offset:1824
	;; [unrolled: 1-line block ×15, first 2 shown]
	v_add_u32_e32 v106, 0x1000, v118
	v_add_u32_e32 v113, 0x2c00, v118
	;; [unrolled: 1-line block ×4, first 2 shown]
	ds_read_b64 v[87:88], v120
	ds_read_b64 v[110:111], v118
	v_add_u32_e32 v89, 0x2000, v118
	ds_read_b64 v[125:126], v119
	ds_read_b64 v[127:128], v58 offset:4320
	ds_read_b64 v[129:130], v41
	ds_read_b64 v[40:41], v40
	ds_read2_b64 v[102:105], v89 offset0:56 offset1:164
	ds_read2_b64 v[106:109], v106 offset0:136 offset1:244
	;; [unrolled: 1-line block ×5, first 2 shown]
	s_mov_b32 s6, 0x667f3bcd
	s_mov_b32 s7, 0x3fe6a09e
	v_mul_lo_u32 v89, s5, v92
	s_mov_b32 s2, 0xa6aea964
	s_mov_b32 s3, 0x3fd87de2
	;; [unrolled: 1-line block ×5, first 2 shown]
	s_waitcnt vmcnt(14) lgkmcnt(10)
	v_mul_f64 v[131:132], v[87:88], v[34:35]
	s_waitcnt vmcnt(13) lgkmcnt(4)
	v_mul_f64 v[133:134], v[102:103], v[38:39]
	s_waitcnt vmcnt(12)
	v_mul_f64 v[135:136], v[4:5], v[44:45]
	s_waitcnt vmcnt(11)
	;; [unrolled: 2-line block ×4, first 2 shown]
	v_mul_f64 v[141:142], v[129:130], v[56:57]
	s_waitcnt vmcnt(8) lgkmcnt(0)
	v_mul_f64 v[143:144], v[121:122], v[61:62]
	v_mul_f64 v[34:35], v[28:29], v[34:35]
	;; [unrolled: 1-line block ×5, first 2 shown]
	s_waitcnt vmcnt(7)
	v_mul_f64 v[145:146], v[125:126], v[65:66]
	s_waitcnt vmcnt(6)
	v_mul_f64 v[147:148], v[119:120], v[69:70]
	;; [unrolled: 2-line block ×8, first 2 shown]
	v_mul_f64 v[81:82], v[26:27], v[81:82]
	v_mul_f64 v[85:86], v[18:19], v[85:86]
	;; [unrolled: 1-line block ×11, first 2 shown]
	v_fma_f64 v[28:29], v[28:29], v[32:33], -v[131:132]
	v_fma_f64 v[113:114], v[113:114], v[46:47], v[137:138]
	v_fma_f64 v[117:118], v[117:118], v[50:51], v[139:140]
	v_fma_f64 v[30:31], v[30:31], v[54:55], -v[141:142]
	v_fma_f64 v[8:9], v[8:9], v[59:60], -v[143:144]
	v_fma_f64 v[32:33], v[32:33], v[87:88], v[34:35]
	v_fma_f64 v[34:35], v[36:37], v[102:103], v[38:39]
	v_fma_f64 v[4:5], v[4:5], v[42:43], -v[44:45]
	v_fma_f64 v[12:13], v[12:13], v[46:47], -v[48:49]
	v_fma_f64 v[24:25], v[24:25], v[63:64], -v[145:146]
	v_fma_f64 v[40:41], v[79:80], v[40:41], v[81:82]
	v_fma_f64 v[46:47], v[83:84], v[104:105], v[85:86]
	v_fma_f64 v[6:7], v[6:7], v[94:95], -v[96:97]
	v_fma_f64 v[14:15], v[14:15], v[98:99], -v[100:101]
	v_fma_f64 v[48:49], v[63:64], v[125:126], v[65:66]
	v_fma_f64 v[63:64], v[67:68], v[119:120], v[69:70]
	v_fma_f64 v[22:23], v[22:23], v[71:72], -v[73:74]
	v_fma_f64 v[10:11], v[10:11], v[75:76], -v[77:78]
	;; [unrolled: 1-line block ×3, first 2 shown]
	v_fma_f64 v[106:107], v[106:107], v[42:43], v[135:136]
	v_fma_f64 v[2:3], v[2:3], v[67:68], -v[147:148]
	v_fma_f64 v[36:37], v[127:128], v[71:72], v[149:150]
	v_fma_f64 v[38:39], v[123:124], v[75:76], v[151:152]
	v_fma_f64 v[26:27], v[26:27], v[79:80], -v[153:154]
	v_fma_f64 v[18:19], v[18:19], v[83:84], -v[155:156]
	v_fma_f64 v[42:43], v[108:109], v[94:95], v[157:158]
	v_fma_f64 v[44:45], v[115:116], v[98:99], v[159:160]
	v_fma_f64 v[0:1], v[0:1], v[50:51], -v[52:53]
	v_fma_f64 v[50:51], v[54:55], v[129:130], v[56:57]
	v_add_f64 v[54:55], v[110:111], -v[117:118]
	v_add_f64 v[8:9], v[30:31], -v[8:9]
	;; [unrolled: 1-line block ×8, first 2 shown]
	v_fma_f64 v[58:59], v[59:60], v[121:122], v[61:62]
	v_add_f64 v[16:17], v[28:29], -v[16:17]
	v_add_f64 v[52:53], v[106:107], -v[113:114]
	;; [unrolled: 1-line block ×4, first 2 shown]
	v_add_f64 v[65:66], v[54:55], v[8:9]
	v_add_f64 v[67:68], v[34:35], v[12:13]
	v_add_f64 v[18:19], v[26:27], -v[18:19]
	v_add_f64 v[44:45], v[42:43], -v[44:45]
	v_add_f64 v[60:61], v[46:47], v[14:15]
	v_add_f64 v[69:70], v[56:57], v[10:11]
	v_add_f64 v[0:1], v[20:21], -v[0:1]
	v_add_f64 v[58:59], v[50:51], -v[58:59]
	;; [unrolled: 1-line block ×4, first 2 shown]
	v_fma_f64 v[75:76], v[67:68], s[6:7], v[65:66]
	v_add_f64 v[73:74], v[18:19], -v[44:45]
	v_mul_lo_u32 v98, s4, v93
	v_fma_f64 v[77:78], v[60:61], s[6:7], v[69:70]
	v_mad_u64_u32 v[83:84], s[0:1], s4, v92, 0
	v_add_f64 v[79:80], v[0:1], -v[58:59]
	v_fma_f64 v[92:93], v[110:111], 2.0, -v[54:55]
	v_fma_f64 v[50:51], v[50:51], 2.0, -v[58:59]
	;; [unrolled: 1-line block ×16, first 2 shown]
	v_fma_f64 v[81:82], v[73:74], s[6:7], v[71:72]
	v_fma_f64 v[75:76], v[63:64], s[6:7], v[75:76]
	;; [unrolled: 1-line block ×4, first 2 shown]
	v_add_f64 v[32:33], v[92:93], -v[50:51]
	v_add_f64 v[38:39], v[28:29], -v[4:5]
	;; [unrolled: 1-line block ×8, first 2 shown]
	v_fma_f64 v[54:55], v[54:55], 2.0, -v[65:66]
	v_fma_f64 v[8:9], v[34:35], 2.0, -v[67:68]
	;; [unrolled: 1-line block ×4, first 2 shown]
	s_mov_b32 s4, 0xcf328d46
	s_mov_b32 s1, 0xbfe6a09e
	s_mov_b32 s0, s6
	s_mov_b32 s5, 0x3fed906b
	v_fma_f64 v[81:82], v[60:61], s[0:1], v[81:82]
	v_fma_f64 v[87:88], v[77:78], s[4:5], v[75:76]
	;; [unrolled: 1-line block ×3, first 2 shown]
	v_add_f64 v[34:35], v[38:39], v[32:33]
	v_add_f64 v[56:57], v[42:43], -v[44:45]
	v_add_f64 v[58:59], v[36:37], v[48:49]
	v_add_f64 v[60:61], v[50:51], -v[52:53]
	v_fma_f64 v[4:5], v[16:17], 2.0, -v[63:64]
	v_fma_f64 v[6:7], v[8:9], s[0:1], v[54:55]
	v_fma_f64 v[62:63], v[2:3], 2.0, -v[71:72]
	v_fma_f64 v[12:13], v[18:19], 2.0, -v[73:74]
	v_fma_f64 v[14:15], v[10:11], s[0:1], v[46:47]
	v_fma_f64 v[67:68], v[0:1], 2.0, -v[79:80]
	v_fma_f64 v[2:3], v[81:82], s[2:3], v[87:88]
	v_fma_f64 v[16:17], v[58:59], s[6:7], v[34:35]
	;; [unrolled: 1-line block ×4, first 2 shown]
	v_fma_f64 v[30:31], v[30:31], 2.0, -v[52:53]
	v_fma_f64 v[87:88], v[12:13], s[0:1], v[62:63]
	v_fma_f64 v[94:95], v[12:13], s[6:7], v[14:15]
	;; [unrolled: 1-line block ×3, first 2 shown]
	v_fma_f64 v[52:53], v[24:25], 2.0, -v[42:43]
	v_fma_f64 v[24:25], v[26:27], 2.0, -v[48:49]
	v_fma_f64 v[48:49], v[20:21], 2.0, -v[50:51]
	v_fma_f64 v[20:21], v[28:29], 2.0, -v[38:39]
	v_fma_f64 v[40:41], v[40:41], 2.0, -v[36:37]
	v_fma_f64 v[22:23], v[22:23], 2.0, -v[44:45]
	v_fma_f64 v[0:1], v[81:82], s[4:5], v[85:86]
	v_fma_f64 v[92:93], v[92:93], 2.0, -v[32:33]
	v_fma_f64 v[38:39], v[65:66], 2.0, -v[75:76]
	;; [unrolled: 1-line block ×3, first 2 shown]
	v_fma_f64 v[6:7], v[56:57], s[6:7], v[16:17]
	v_fma_f64 v[4:5], v[58:59], s[0:1], v[18:19]
	;; [unrolled: 1-line block ×5, first 2 shown]
	v_fma_f64 v[10:11], v[75:76], 2.0, -v[2:3]
	v_add_f64 v[69:70], v[48:49], -v[20:21]
	v_add_f64 v[75:76], v[40:41], -v[22:23]
	v_fma_f64 v[0:1], v[77:78], s[8:9], v[0:1]
	v_add_f64 v[44:45], v[92:93], -v[30:31]
	v_fma_f64 v[71:72], v[71:72], 2.0, -v[81:82]
	v_fma_f64 v[30:31], v[28:29], s[8:9], v[38:39]
	v_fma_f64 v[77:78], v[79:80], 2.0, -v[85:86]
	v_fma_f64 v[79:80], v[32:33], 2.0, -v[34:35]
	v_fma_f64 v[58:59], v[36:37], 2.0, -v[58:59]
	v_fma_f64 v[12:13], v[60:61], 2.0, -v[4:5]
	v_fma_f64 v[18:19], v[87:88], s[4:5], v[16:17]
	v_add_f64 v[64:65], v[52:53], -v[24:25]
	v_add_f64 v[24:25], v[69:70], -v[75:76]
	v_fma_f64 v[56:57], v[42:43], 2.0, -v[56:57]
	v_fma_f64 v[60:61], v[50:51], 2.0, -v[60:61]
	;; [unrolled: 1-line block ×4, first 2 shown]
	v_fma_f64 v[30:31], v[71:72], s[4:5], v[30:31]
	v_fma_f64 v[36:37], v[71:72], s[8:9], v[77:78]
	;; [unrolled: 1-line block ×3, first 2 shown]
	v_fma_f64 v[71:72], v[54:55], 2.0, -v[73:74]
	v_fma_f64 v[54:55], v[46:47], 2.0, -v[94:95]
	s_mov_b32 s12, s4
	v_fma_f64 v[22:23], v[73:74], 2.0, -v[18:19]
	v_add_f64 v[26:27], v[44:45], v[64:65]
	v_fma_f64 v[32:33], v[69:70], 2.0, -v[24:25]
	v_fma_f64 v[46:47], v[56:57], s[0:1], v[60:61]
	v_fma_f64 v[66:67], v[50:51], s[12:13], v[62:63]
	v_fma_f64 v[73:74], v[92:93], 2.0, -v[44:45]
	v_fma_f64 v[75:76], v[40:41], 2.0, -v[75:76]
	;; [unrolled: 1-line block ×4, first 2 shown]
	v_fma_f64 v[42:43], v[56:57], s[6:7], v[42:43]
	v_fma_f64 v[56:57], v[54:55], s[12:13], v[71:72]
	v_fma_f64 v[14:15], v[34:35], 2.0, -v[6:7]
	v_fma_f64 v[34:35], v[44:45], 2.0, -v[26:27]
	v_fma_f64 v[40:41], v[58:59], s[0:1], v[46:47]
	v_fma_f64 v[44:45], v[54:55], s[8:9], v[66:67]
	v_add_f64 v[54:55], v[73:74], -v[75:76]
	v_add_f64 v[52:53], v[68:69], -v[48:49]
	v_mad_u64_u32 v[64:65], s[0:1], s20, v112, 0
	v_fma_f64 v[46:47], v[50:51], s[2:3], v[56:57]
	v_add3_u32 v84, v84, v98, v89
	v_mov_b32_e32 v56, v65
	v_mad_u64_u32 v[65:66], s[0:1], s21, v112, v[56:57]
	v_lshlrev_b64 v[66:67], 4, v[83:84]
	v_fma_f64 v[48:49], v[60:61], 2.0, -v[40:41]
	v_fma_f64 v[56:57], v[62:63], 2.0, -v[44:45]
	;; [unrolled: 1-line block ×4, first 2 shown]
	v_mov_b32_e32 v68, s11
	v_add_co_u32_e32 v70, vcc, s10, v66
	v_fma_f64 v[58:59], v[71:72], 2.0, -v[46:47]
	v_addc_co_u32_e32 v71, vcc, v68, v67, vcc
	v_lshlrev_b64 v[66:67], 4, v[90:91]
	v_add_u32_e32 v72, 0x6c, v112
	v_mad_u64_u32 v[68:69], s[0:1], s20, v72, 0
	v_add_co_u32_e32 v70, vcc, v70, v66
	v_lshlrev_b64 v[64:65], 4, v[64:65]
	v_addc_co_u32_e32 v71, vcc, v71, v67, vcc
	v_add_co_u32_e32 v64, vcc, v70, v64
	v_mov_b32_e32 v66, v69
	v_addc_co_u32_e32 v65, vcc, v71, v65, vcc
	v_mad_u64_u32 v[66:67], s[0:1], s21, v72, v[66:67]
	global_store_dwordx4 v[64:65], v[60:63], off
	v_add_u32_e32 v64, 0xd8, v112
	v_mad_u64_u32 v[62:63], s[0:1], s20, v64, 0
	v_mov_b32_e32 v69, v66
	v_fma_f64 v[50:51], v[79:80], 2.0, -v[42:43]
	v_lshlrev_b64 v[60:61], 4, v[68:69]
	v_mad_u64_u32 v[63:64], s[0:1], s21, v64, v[63:64]
	v_fma_f64 v[28:29], v[28:29], s[12:13], v[36:37]
	v_add_co_u32_e32 v60, vcc, v70, v60
	v_addc_co_u32_e32 v61, vcc, v71, v61, vcc
	v_add_u32_e32 v66, 0x144, v112
	v_mad_u64_u32 v[64:65], s[0:1], s20, v66, 0
	global_store_dwordx4 v[60:61], v[56:59], off
	v_fma_f64 v[16:17], v[87:88], s[2:3], v[96:97]
	v_lshlrev_b64 v[56:57], 4, v[62:63]
	v_mov_b32_e32 v58, v65
	v_add_co_u32_e32 v56, vcc, v70, v56
	v_addc_co_u32_e32 v57, vcc, v71, v57, vcc
	global_store_dwordx4 v[56:57], v[48:51], off
	v_add_u32_e32 v56, 0x1b0, v112
	v_mad_u64_u32 v[58:59], s[0:1], s21, v66, v[58:59]
	v_mad_u64_u32 v[50:51], s[0:1], s20, v56, 0
	v_fma_f64 v[38:39], v[38:39], 2.0, -v[30:31]
	v_fma_f64 v[36:37], v[77:78], 2.0, -v[28:29]
	v_mov_b32_e32 v65, v58
	v_mad_u64_u32 v[56:57], s[0:1], s21, v56, v[51:52]
	v_lshlrev_b64 v[48:49], 4, v[64:65]
	v_fma_f64 v[16:17], v[94:95], s[12:13], v[16:17]
	v_add_co_u32_e32 v48, vcc, v70, v48
	v_add_u32_e32 v59, 0x21c, v112
	v_addc_co_u32_e32 v49, vcc, v71, v49, vcc
	v_mad_u64_u32 v[57:58], s[0:1], s20, v59, 0
	v_mov_b32_e32 v51, v56
	global_store_dwordx4 v[48:49], v[36:39], off
	v_fma_f64 v[20:21], v[96:97], 2.0, -v[16:17]
	v_lshlrev_b64 v[36:37], 4, v[50:51]
	v_mov_b32_e32 v38, v58
	v_add_co_u32_e32 v36, vcc, v70, v36
	v_addc_co_u32_e32 v37, vcc, v71, v37, vcc
	v_mad_u64_u32 v[38:39], s[0:1], s21, v59, v[38:39]
	global_store_dwordx4 v[36:37], v[32:35], off
	v_add_u32_e32 v36, 0x288, v112
	v_mad_u64_u32 v[34:35], s[0:1], s20, v36, 0
	v_mov_b32_e32 v58, v38
	v_lshlrev_b64 v[32:33], 4, v[57:58]
	v_mad_u64_u32 v[35:36], s[0:1], s21, v36, v[35:36]
	v_add_co_u32_e32 v32, vcc, v70, v32
	v_addc_co_u32_e32 v33, vcc, v71, v33, vcc
	v_add_u32_e32 v38, 0x2f4, v112
	v_mad_u64_u32 v[36:37], s[0:1], s20, v38, 0
	global_store_dwordx4 v[32:33], v[20:23], off
	v_fma_f64 v[8:9], v[85:86], 2.0, -v[0:1]
	v_lshlrev_b64 v[20:21], 4, v[34:35]
	v_mov_b32_e32 v22, v37
	v_add_co_u32_e32 v20, vcc, v70, v20
	v_addc_co_u32_e32 v21, vcc, v71, v21, vcc
	global_store_dwordx4 v[20:21], v[12:15], off
	v_add_u32_e32 v20, 0x360, v112
	v_mad_u64_u32 v[22:23], s[0:1], s21, v38, v[22:23]
	v_mad_u64_u32 v[14:15], s[0:1], s20, v20, 0
	v_mov_b32_e32 v37, v22
	v_add_u32_e32 v23, 0x3cc, v112
	v_mad_u64_u32 v[20:21], s[0:1], s21, v20, v[15:16]
	v_lshlrev_b64 v[12:13], 4, v[36:37]
	v_mad_u64_u32 v[21:22], s[0:1], s20, v23, 0
	v_add_co_u32_e32 v12, vcc, v70, v12
	v_addc_co_u32_e32 v13, vcc, v71, v13, vcc
	global_store_dwordx4 v[12:13], v[8:11], off
	v_add_u32_e32 v12, 0x438, v112
	v_mov_b32_e32 v10, v22
	v_mad_u64_u32 v[10:11], s[0:1], s21, v23, v[10:11]
	v_mov_b32_e32 v15, v20
	v_lshlrev_b64 v[8:9], 4, v[14:15]
	v_mov_b32_e32 v22, v10
	v_mad_u64_u32 v[10:11], s[0:1], s20, v12, 0
	v_add_co_u32_e32 v8, vcc, v70, v8
	v_addc_co_u32_e32 v9, vcc, v71, v9, vcc
	v_mad_u64_u32 v[11:12], s[0:1], s21, v12, v[11:12]
	v_add_u32_e32 v14, 0x4a4, v112
	global_store_dwordx4 v[8:9], v[52:55], off
	v_lshlrev_b64 v[8:9], 4, v[21:22]
	v_mad_u64_u32 v[12:13], s[0:1], s20, v14, 0
	v_add_co_u32_e32 v8, vcc, v70, v8
	v_addc_co_u32_e32 v9, vcc, v71, v9, vcc
	global_store_dwordx4 v[8:9], v[44:47], off
	v_lshlrev_b64 v[8:9], 4, v[10:11]
	v_mov_b32_e32 v10, v13
	v_mad_u64_u32 v[10:11], s[0:1], s21, v14, v[10:11]
	v_add_co_u32_e32 v8, vcc, v70, v8
	v_addc_co_u32_e32 v9, vcc, v71, v9, vcc
	v_mov_b32_e32 v13, v10
	global_store_dwordx4 v[8:9], v[40:43], off
	v_lshlrev_b64 v[8:9], 4, v[12:13]
	v_add_u32_e32 v12, 0x510, v112
	v_mad_u64_u32 v[10:11], s[0:1], s20, v12, 0
	v_add_u32_e32 v14, 0x57c, v112
	v_add_co_u32_e32 v8, vcc, v70, v8
	v_mad_u64_u32 v[11:12], s[0:1], s21, v12, v[11:12]
	v_mad_u64_u32 v[12:13], s[0:1], s20, v14, 0
	v_addc_co_u32_e32 v9, vcc, v71, v9, vcc
	global_store_dwordx4 v[8:9], v[28:31], off
	v_lshlrev_b64 v[8:9], 4, v[10:11]
	v_mov_b32_e32 v10, v13
	v_mad_u64_u32 v[10:11], s[0:1], s21, v14, v[10:11]
	v_add_co_u32_e32 v8, vcc, v70, v8
	v_addc_co_u32_e32 v9, vcc, v71, v9, vcc
	v_mov_b32_e32 v13, v10
	global_store_dwordx4 v[8:9], v[24:27], off
	v_lshlrev_b64 v[8:9], 4, v[12:13]
	v_add_u32_e32 v12, 0x5e8, v112
	v_mad_u64_u32 v[10:11], s[0:1], s20, v12, 0
	v_add_u32_e32 v14, 0x654, v112
	v_add_co_u32_e32 v8, vcc, v70, v8
	v_mad_u64_u32 v[11:12], s[0:1], s21, v12, v[11:12]
	v_mad_u64_u32 v[12:13], s[0:1], s20, v14, 0
	v_addc_co_u32_e32 v9, vcc, v71, v9, vcc
	global_store_dwordx4 v[8:9], v[16:19], off
	v_lshlrev_b64 v[8:9], 4, v[10:11]
	v_mov_b32_e32 v10, v13
	v_mad_u64_u32 v[10:11], s[0:1], s21, v14, v[10:11]
	v_add_co_u32_e32 v8, vcc, v70, v8
	v_addc_co_u32_e32 v9, vcc, v71, v9, vcc
	v_mov_b32_e32 v13, v10
	global_store_dwordx4 v[8:9], v[4:7], off
	s_nop 0
	v_lshlrev_b64 v[4:5], 4, v[12:13]
	v_add_co_u32_e32 v4, vcc, v70, v4
	v_addc_co_u32_e32 v5, vcc, v71, v5, vcc
	global_store_dwordx4 v[4:5], v[0:3], off
.LBB0_37:
	s_endpgm
	.section	.rodata,"a",@progbits
	.p2align	6, 0x0
	.amdhsa_kernel fft_rtc_fwd_len1728_factors_3_6_6_16_wgs_108_tpt_108_halfLds_dp_op_CI_CI_sbrr_dirReg
		.amdhsa_group_segment_fixed_size 0
		.amdhsa_private_segment_fixed_size 0
		.amdhsa_kernarg_size 104
		.amdhsa_user_sgpr_count 6
		.amdhsa_user_sgpr_private_segment_buffer 1
		.amdhsa_user_sgpr_dispatch_ptr 0
		.amdhsa_user_sgpr_queue_ptr 0
		.amdhsa_user_sgpr_kernarg_segment_ptr 1
		.amdhsa_user_sgpr_dispatch_id 0
		.amdhsa_user_sgpr_flat_scratch_init 0
		.amdhsa_user_sgpr_private_segment_size 0
		.amdhsa_uses_dynamic_stack 0
		.amdhsa_system_sgpr_private_segment_wavefront_offset 0
		.amdhsa_system_sgpr_workgroup_id_x 1
		.amdhsa_system_sgpr_workgroup_id_y 0
		.amdhsa_system_sgpr_workgroup_id_z 0
		.amdhsa_system_sgpr_workgroup_info 0
		.amdhsa_system_vgpr_workitem_id 0
		.amdhsa_next_free_vgpr 188
		.amdhsa_next_free_sgpr 32
		.amdhsa_reserve_vcc 1
		.amdhsa_reserve_flat_scratch 0
		.amdhsa_float_round_mode_32 0
		.amdhsa_float_round_mode_16_64 0
		.amdhsa_float_denorm_mode_32 3
		.amdhsa_float_denorm_mode_16_64 3
		.amdhsa_dx10_clamp 1
		.amdhsa_ieee_mode 1
		.amdhsa_fp16_overflow 0
		.amdhsa_exception_fp_ieee_invalid_op 0
		.amdhsa_exception_fp_denorm_src 0
		.amdhsa_exception_fp_ieee_div_zero 0
		.amdhsa_exception_fp_ieee_overflow 0
		.amdhsa_exception_fp_ieee_underflow 0
		.amdhsa_exception_fp_ieee_inexact 0
		.amdhsa_exception_int_div_zero 0
	.end_amdhsa_kernel
	.text
.Lfunc_end0:
	.size	fft_rtc_fwd_len1728_factors_3_6_6_16_wgs_108_tpt_108_halfLds_dp_op_CI_CI_sbrr_dirReg, .Lfunc_end0-fft_rtc_fwd_len1728_factors_3_6_6_16_wgs_108_tpt_108_halfLds_dp_op_CI_CI_sbrr_dirReg
                                        ; -- End function
	.section	.AMDGPU.csdata,"",@progbits
; Kernel info:
; codeLenInByte = 11800
; NumSgprs: 36
; NumVgprs: 188
; ScratchSize: 0
; MemoryBound: 1
; FloatMode: 240
; IeeeMode: 1
; LDSByteSize: 0 bytes/workgroup (compile time only)
; SGPRBlocks: 4
; VGPRBlocks: 46
; NumSGPRsForWavesPerEU: 36
; NumVGPRsForWavesPerEU: 188
; Occupancy: 1
; WaveLimiterHint : 1
; COMPUTE_PGM_RSRC2:SCRATCH_EN: 0
; COMPUTE_PGM_RSRC2:USER_SGPR: 6
; COMPUTE_PGM_RSRC2:TRAP_HANDLER: 0
; COMPUTE_PGM_RSRC2:TGID_X_EN: 1
; COMPUTE_PGM_RSRC2:TGID_Y_EN: 0
; COMPUTE_PGM_RSRC2:TGID_Z_EN: 0
; COMPUTE_PGM_RSRC2:TIDIG_COMP_CNT: 0
	.type	__hip_cuid_c6110030cc64d025,@object ; @__hip_cuid_c6110030cc64d025
	.section	.bss,"aw",@nobits
	.globl	__hip_cuid_c6110030cc64d025
__hip_cuid_c6110030cc64d025:
	.byte	0                               ; 0x0
	.size	__hip_cuid_c6110030cc64d025, 1

	.ident	"AMD clang version 19.0.0git (https://github.com/RadeonOpenCompute/llvm-project roc-6.4.0 25133 c7fe45cf4b819c5991fe208aaa96edf142730f1d)"
	.section	".note.GNU-stack","",@progbits
	.addrsig
	.addrsig_sym __hip_cuid_c6110030cc64d025
	.amdgpu_metadata
---
amdhsa.kernels:
  - .args:
      - .actual_access:  read_only
        .address_space:  global
        .offset:         0
        .size:           8
        .value_kind:     global_buffer
      - .offset:         8
        .size:           8
        .value_kind:     by_value
      - .actual_access:  read_only
        .address_space:  global
        .offset:         16
        .size:           8
        .value_kind:     global_buffer
      - .actual_access:  read_only
        .address_space:  global
        .offset:         24
        .size:           8
        .value_kind:     global_buffer
      - .actual_access:  read_only
        .address_space:  global
        .offset:         32
        .size:           8
        .value_kind:     global_buffer
      - .offset:         40
        .size:           8
        .value_kind:     by_value
      - .actual_access:  read_only
        .address_space:  global
        .offset:         48
        .size:           8
        .value_kind:     global_buffer
      - .actual_access:  read_only
        .address_space:  global
        .offset:         56
        .size:           8
        .value_kind:     global_buffer
      - .offset:         64
        .size:           4
        .value_kind:     by_value
      - .actual_access:  read_only
        .address_space:  global
        .offset:         72
        .size:           8
        .value_kind:     global_buffer
      - .actual_access:  read_only
        .address_space:  global
        .offset:         80
        .size:           8
        .value_kind:     global_buffer
      - .actual_access:  read_only
        .address_space:  global
        .offset:         88
        .size:           8
        .value_kind:     global_buffer
      - .actual_access:  write_only
        .address_space:  global
        .offset:         96
        .size:           8
        .value_kind:     global_buffer
    .group_segment_fixed_size: 0
    .kernarg_segment_align: 8
    .kernarg_segment_size: 104
    .language:       OpenCL C
    .language_version:
      - 2
      - 0
    .max_flat_workgroup_size: 108
    .name:           fft_rtc_fwd_len1728_factors_3_6_6_16_wgs_108_tpt_108_halfLds_dp_op_CI_CI_sbrr_dirReg
    .private_segment_fixed_size: 0
    .sgpr_count:     36
    .sgpr_spill_count: 0
    .symbol:         fft_rtc_fwd_len1728_factors_3_6_6_16_wgs_108_tpt_108_halfLds_dp_op_CI_CI_sbrr_dirReg.kd
    .uniform_work_group_size: 1
    .uses_dynamic_stack: false
    .vgpr_count:     188
    .vgpr_spill_count: 0
    .wavefront_size: 64
amdhsa.target:   amdgcn-amd-amdhsa--gfx906
amdhsa.version:
  - 1
  - 2
...

	.end_amdgpu_metadata
